;; amdgpu-corpus repo=ROCm/rocFFT kind=compiled arch=gfx906 opt=O3
	.text
	.amdgcn_target "amdgcn-amd-amdhsa--gfx906"
	.amdhsa_code_object_version 6
	.protected	bluestein_single_fwd_len832_dim1_dp_op_CI_CI ; -- Begin function bluestein_single_fwd_len832_dim1_dp_op_CI_CI
	.globl	bluestein_single_fwd_len832_dim1_dp_op_CI_CI
	.p2align	8
	.type	bluestein_single_fwd_len832_dim1_dp_op_CI_CI,@function
bluestein_single_fwd_len832_dim1_dp_op_CI_CI: ; @bluestein_single_fwd_len832_dim1_dp_op_CI_CI
; %bb.0:
	s_mov_b64 s[50:51], s[2:3]
	s_mov_b64 s[48:49], s[0:1]
	s_load_dwordx4 s[0:3], s[4:5], 0x28
	v_mul_u32_u24_e32 v1, 0x277, v0
	v_add_u32_sdwa v252, s6, v1 dst_sel:DWORD dst_unused:UNUSED_PAD src0_sel:DWORD src1_sel:WORD_1
	v_mov_b32_e32 v253, 0
	s_add_u32 s48, s48, s7
	s_waitcnt lgkmcnt(0)
	v_cmp_gt_u64_e32 vcc, s[0:1], v[252:253]
	s_addc_u32 s49, s49, 0
	s_and_saveexec_b64 s[0:1], vcc
	s_cbranch_execz .LBB0_15
; %bb.1:
	s_load_dwordx2 s[12:13], s[4:5], 0x0
	s_load_dwordx2 s[14:15], s[4:5], 0x38
	s_movk_i32 s0, 0x68
	v_mul_lo_u16_sdwa v1, v1, s0 dst_sel:DWORD dst_unused:UNUSED_PAD src0_sel:WORD_1 src1_sel:DWORD
	v_sub_u16_e32 v242, v0, v1
	v_cmp_gt_u16_e32 vcc, 64, v242
	v_lshlrev_b32_e32 v241, 4, v242
	s_and_saveexec_b64 s[6:7], vcc
	s_cbranch_execz .LBB0_3
; %bb.2:
	s_load_dwordx2 s[0:1], s[4:5], 0x18
	v_or_b32_e32 v9, 64, v242
	v_mov_b32_e32 v8, s3
	v_or_b32_e32 v45, 0x100, v242
	v_or_b32_e32 v46, 0x140, v242
	s_waitcnt lgkmcnt(0)
	s_load_dwordx4 s[8:11], s[0:1], 0x0
	v_or_b32_e32 v54, 0x180, v242
	v_or_b32_e32 v62, 0x1c0, v242
	;; [unrolled: 1-line block ×4, first 2 shown]
	s_waitcnt lgkmcnt(0)
	v_mad_u64_u32 v[0:1], s[0:1], s10, v252, 0
	v_mad_u64_u32 v[2:3], s[0:1], s8, v242, 0
	v_or_b32_e32 v86, 0x280, v242
	v_or_b32_e32 v94, 0x2c0, v242
	v_mad_u64_u32 v[4:5], s[0:1], s11, v252, v[1:2]
	v_or_b32_e32 v102, 0x300, v242
	v_mad_u64_u32 v[5:6], s[0:1], s9, v242, v[3:4]
	v_mad_u64_u32 v[6:7], s[0:1], s8, v9, 0
	v_mov_b32_e32 v1, v4
	v_lshlrev_b64 v[0:1], 4, v[0:1]
	v_mov_b32_e32 v3, v5
	v_lshlrev_b64 v[2:3], 4, v[2:3]
	v_add_co_u32_e64 v4, s[0:1], s2, v0
	v_mov_b32_e32 v0, v7
	v_addc_co_u32_e64 v5, s[0:1], v8, v1, s[0:1]
	v_mad_u64_u32 v[7:8], s[0:1], s9, v9, v[0:1]
	v_add_co_u32_e64 v14, s[0:1], v4, v2
	v_or_b32_e32 v8, 0x80, v242
	v_addc_co_u32_e64 v15, s[0:1], v5, v3, s[0:1]
	v_mad_u64_u32 v[16:17], s[0:1], s8, v8, 0
	v_lshlrev_b64 v[6:7], 4, v[6:7]
	global_load_dwordx4 v[0:3], v241, s[12:13]
	v_add_co_u32_e64 v18, s[0:1], v4, v6
	v_mov_b32_e32 v6, v17
	v_addc_co_u32_e64 v19, s[0:1], v5, v7, s[0:1]
	v_mad_u64_u32 v[20:21], s[0:1], s9, v8, v[6:7]
	v_or_b32_e32 v21, 0xc0, v242
	v_mad_u64_u32 v[22:23], s[0:1], s8, v21, 0
	v_mov_b32_e32 v17, v20
	global_load_dwordx4 v[6:9], v[14:15], off
	global_load_dwordx4 v[10:13], v[18:19], off
	v_lshlrev_b64 v[14:15], 4, v[16:17]
	v_mov_b32_e32 v16, v23
	v_mad_u64_u32 v[23:24], s[0:1], s9, v21, v[16:17]
	v_add_co_u32_e64 v34, s[0:1], v4, v14
	v_addc_co_u32_e64 v35, s[0:1], v5, v15, s[0:1]
	v_mad_u64_u32 v[36:37], s[0:1], s8, v45, 0
	v_lshlrev_b64 v[22:23], 4, v[22:23]
	global_load_dwordx4 v[14:17], v241, s[12:13] offset:1024
	global_load_dwordx4 v[18:21], v241, s[12:13] offset:2048
	v_add_co_u32_e64 v38, s[0:1], v4, v22
	v_mov_b32_e32 v22, v37
	v_addc_co_u32_e64 v39, s[0:1], v5, v23, s[0:1]
	v_mad_u64_u32 v[40:41], s[0:1], s9, v45, v[22:23]
	v_mad_u64_u32 v[42:43], s[0:1], s8, v46, 0
	v_mov_b32_e32 v37, v40
	global_load_dwordx4 v[22:25], v[34:35], off
	global_load_dwordx4 v[26:29], v[38:39], off
	global_load_dwordx4 v[30:33], v241, s[12:13] offset:3072
	v_lshlrev_b64 v[34:35], 4, v[36:37]
	v_mov_b32_e32 v36, v43
	v_add_co_u32_e64 v34, s[0:1], v4, v34
	v_addc_co_u32_e64 v35, s[0:1], v5, v35, s[0:1]
	v_mad_u64_u32 v[43:44], s[0:1], s9, v46, v[36:37]
	v_mad_u64_u32 v[50:51], s[0:1], s8, v54, 0
	v_lshlrev_b64 v[42:43], 4, v[42:43]
	v_lshlrev_b32_e32 v38, 4, v45
	v_add_co_u32_e64 v42, s[0:1], v4, v42
	v_mov_b32_e32 v44, v51
	v_addc_co_u32_e64 v43, s[0:1], v5, v43, s[0:1]
	v_mad_u64_u32 v[51:52], s[0:1], s9, v54, v[44:45]
	v_mad_u64_u32 v[58:59], s[0:1], s8, v62, 0
	v_lshlrev_b64 v[50:51], 4, v[50:51]
	global_load_dwordx4 v[34:37], v[34:35], off
	v_add_co_u32_e64 v50, s[0:1], v4, v50
	v_mov_b32_e32 v52, v59
	v_addc_co_u32_e64 v51, s[0:1], v5, v51, s[0:1]
	v_mad_u64_u32 v[59:60], s[0:1], s9, v62, v[52:53]
	v_mad_u64_u32 v[66:67], s[0:1], s8, v70, 0
	v_lshlrev_b64 v[58:59], 4, v[58:59]
	global_load_dwordx4 v[38:41], v38, s[12:13]
	v_add_co_u32_e64 v58, s[0:1], v4, v58
	v_mov_b32_e32 v60, v67
	v_addc_co_u32_e64 v59, s[0:1], v5, v59, s[0:1]
	v_mad_u64_u32 v[67:68], s[0:1], s9, v70, v[60:61]
	v_mad_u64_u32 v[74:75], s[0:1], s8, v78, 0
	v_lshlrev_b64 v[66:67], 4, v[66:67]
	v_lshlrev_b32_e32 v46, 4, v46
	v_add_co_u32_e64 v66, s[0:1], v4, v66
	v_mov_b32_e32 v68, v75
	v_addc_co_u32_e64 v67, s[0:1], v5, v67, s[0:1]
	v_mad_u64_u32 v[75:76], s[0:1], s9, v78, v[68:69]
	v_mad_u64_u32 v[82:83], s[0:1], s8, v86, 0
	v_lshlrev_b64 v[74:75], 4, v[74:75]
	global_load_dwordx4 v[42:45], v[42:43], off
	v_add_co_u32_e64 v74, s[0:1], v4, v74
	global_load_dwordx4 v[50:53], v[50:51], off
	v_mov_b32_e32 v76, v83
	v_addc_co_u32_e64 v75, s[0:1], v5, v75, s[0:1]
	v_mad_u64_u32 v[83:84], s[0:1], s9, v86, v[76:77]
	v_mad_u64_u32 v[90:91], s[0:1], s8, v94, 0
	v_lshlrev_b64 v[82:83], 4, v[82:83]
	global_load_dwordx4 v[46:49], v46, s[12:13]
	v_add_co_u32_e64 v82, s[0:1], v4, v82
	v_mov_b32_e32 v84, v91
	v_addc_co_u32_e64 v83, s[0:1], v5, v83, s[0:1]
	v_mad_u64_u32 v[91:92], s[0:1], s9, v94, v[84:85]
	v_mad_u64_u32 v[98:99], s[0:1], s8, v102, 0
	v_lshlrev_b64 v[90:91], 4, v[90:91]
	v_lshlrev_b32_e32 v54, 4, v54
	global_load_dwordx4 v[54:57], v54, s[12:13]
	v_add_co_u32_e64 v90, s[0:1], v4, v90
	v_mov_b32_e32 v92, v99
	v_addc_co_u32_e64 v91, s[0:1], v5, v91, s[0:1]
	v_mad_u64_u32 v[99:100], s[0:1], s9, v102, v[92:93]
	v_lshlrev_b32_e32 v62, 4, v62
	global_load_dwordx4 v[58:61], v[58:59], off
	v_lshlrev_b32_e32 v70, 4, v70
	global_load_dwordx4 v[66:69], v[66:67], off
	v_lshlrev_b64 v[98:99], 4, v[98:99]
	global_load_dwordx4 v[62:65], v62, s[12:13]
	v_lshlrev_b32_e32 v78, 4, v78
	global_load_dwordx4 v[70:73], v70, s[12:13]
	v_lshlrev_b32_e32 v86, 4, v86
	global_load_dwordx4 v[74:77], v[74:75], off
	v_add_co_u32_e64 v4, s[0:1], v4, v98
	global_load_dwordx4 v[82:85], v[82:83], off
	v_lshlrev_b32_e32 v94, 4, v94
	global_load_dwordx4 v[78:81], v78, s[12:13]
	v_addc_co_u32_e64 v5, s[0:1], v5, v99, s[0:1]
	global_load_dwordx4 v[86:89], v86, s[12:13]
	s_waitcnt vmcnt(20)
	v_mul_f64 v[106:107], v[6:7], v[2:3]
	global_load_dwordx4 v[90:93], v[90:91], off
	s_nop 0
	global_load_dwordx4 v[94:97], v94, s[12:13]
	s_nop 0
	global_load_dwordx4 v[98:101], v[4:5], off
	v_lshlrev_b32_e32 v4, 4, v102
	global_load_dwordx4 v[102:105], v4, s[12:13]
	v_mul_f64 v[4:5], v[8:9], v[2:3]
	s_waitcnt vmcnt(16)
	v_mul_f64 v[108:109], v[36:37], v[40:41]
	v_mul_f64 v[40:41], v[34:35], v[40:41]
	v_fma_f64 v[2:3], v[6:7], v[0:1], v[4:5]
	v_fma_f64 v[4:5], v[8:9], v[0:1], -v[106:107]
	v_mul_f64 v[0:1], v[12:13], v[16:17]
	v_mul_f64 v[8:9], v[10:11], v[16:17]
	;; [unrolled: 1-line block ×6, first 2 shown]
	v_fma_f64 v[6:7], v[10:11], v[14:15], v[0:1]
	v_fma_f64 v[8:9], v[12:13], v[14:15], -v[8:9]
	v_fma_f64 v[10:11], v[22:23], v[18:19], v[16:17]
	v_fma_f64 v[12:13], v[24:25], v[18:19], -v[20:21]
	;; [unrolled: 2-line block ×4, first 2 shown]
	ds_write_b128 v241, v[2:5]
	ds_write_b128 v241, v[6:9] offset:1024
	ds_write_b128 v241, v[10:13] offset:2048
	;; [unrolled: 1-line block ×4, first 2 shown]
	s_waitcnt vmcnt(13)
	v_mul_f64 v[0:1], v[44:45], v[48:49]
	v_mul_f64 v[2:3], v[42:43], v[48:49]
	v_fma_f64 v[0:1], v[42:43], v[46:47], v[0:1]
	v_fma_f64 v[2:3], v[44:45], v[46:47], -v[2:3]
	s_waitcnt vmcnt(12)
	v_mul_f64 v[4:5], v[52:53], v[56:57]
	v_mul_f64 v[6:7], v[50:51], v[56:57]
	v_fma_f64 v[4:5], v[50:51], v[54:55], v[4:5]
	v_fma_f64 v[6:7], v[52:53], v[54:55], -v[6:7]
	s_waitcnt vmcnt(9)
	v_mul_f64 v[8:9], v[60:61], v[64:65]
	v_mul_f64 v[10:11], v[58:59], v[64:65]
	s_waitcnt vmcnt(8)
	v_mul_f64 v[12:13], v[68:69], v[72:73]
	v_mul_f64 v[14:15], v[66:67], v[72:73]
	v_fma_f64 v[8:9], v[58:59], v[62:63], v[8:9]
	s_waitcnt vmcnt(5)
	v_mul_f64 v[16:17], v[76:77], v[80:81]
	v_mul_f64 v[18:19], v[74:75], v[80:81]
	v_fma_f64 v[10:11], v[60:61], v[62:63], -v[10:11]
	s_waitcnt vmcnt(4)
	v_mul_f64 v[20:21], v[84:85], v[88:89]
	v_mul_f64 v[22:23], v[82:83], v[88:89]
	v_fma_f64 v[12:13], v[66:67], v[70:71], v[12:13]
	v_fma_f64 v[14:15], v[68:69], v[70:71], -v[14:15]
	s_waitcnt vmcnt(2)
	v_mul_f64 v[24:25], v[92:93], v[96:97]
	v_mul_f64 v[26:27], v[90:91], v[96:97]
	v_fma_f64 v[16:17], v[74:75], v[78:79], v[16:17]
	;; [unrolled: 5-line block ×3, first 2 shown]
	v_fma_f64 v[22:23], v[84:85], v[86:87], -v[22:23]
	v_fma_f64 v[24:25], v[90:91], v[94:95], v[24:25]
	v_fma_f64 v[26:27], v[92:93], v[94:95], -v[26:27]
	v_fma_f64 v[28:29], v[98:99], v[102:103], v[28:29]
	v_fma_f64 v[30:31], v[100:101], v[102:103], -v[30:31]
	ds_write_b128 v241, v[0:3] offset:5120
	ds_write_b128 v241, v[4:7] offset:6144
	;; [unrolled: 1-line block ×8, first 2 shown]
.LBB0_3:
	s_or_b64 exec, exec, s[6:7]
	s_load_dwordx2 s[0:1], s[4:5], 0x20
	s_load_dwordx2 s[2:3], s[4:5], 0x8
	s_waitcnt lgkmcnt(0)
	s_barrier
	s_waitcnt lgkmcnt(0)
                                        ; implicit-def: $vgpr20_vgpr21
                                        ; implicit-def: $vgpr24_vgpr25
                                        ; implicit-def: $vgpr28_vgpr29
                                        ; implicit-def: $vgpr32_vgpr33
                                        ; implicit-def: $vgpr36_vgpr37
                                        ; implicit-def: $vgpr40_vgpr41
                                        ; implicit-def: $vgpr44_vgpr45
                                        ; implicit-def: $vgpr48_vgpr49
                                        ; implicit-def: $vgpr52_vgpr53
                                        ; implicit-def: $vgpr56_vgpr57
                                        ; implicit-def: $vgpr60_vgpr61
                                        ; implicit-def: $vgpr64_vgpr65
                                        ; implicit-def: $vgpr68_vgpr69
	s_and_saveexec_b64 s[4:5], vcc
	s_cbranch_execz .LBB0_5
; %bb.4:
	ds_read_b128 v[20:23], v241
	ds_read_b128 v[24:27], v241 offset:1024
	ds_read_b128 v[28:31], v241 offset:2048
	;; [unrolled: 1-line block ×12, first 2 shown]
.LBB0_5:
	s_or_b64 exec, exec, s[4:5]
	s_waitcnt lgkmcnt(0)
	v_add_f64 v[72:73], v[26:27], -v[70:71]
	v_add_f64 v[159:160], v[24:25], -v[68:69]
	s_mov_b32 s24, 0x4267c47c
	s_mov_b32 s25, 0xbfddbe06
	v_add_f64 v[116:117], v[24:25], v[68:69]
	v_add_f64 v[120:121], v[26:27], v[70:71]
	v_add_f64 v[74:75], v[30:31], -v[66:67]
	v_add_f64 v[175:176], v[28:29], -v[64:65]
	v_mul_f64 v[76:77], v[72:73], s[24:25]
	v_mul_f64 v[78:79], v[159:160], s[24:25]
	s_mov_b32 s6, 0xe00740e9
	s_mov_b32 s20, 0x42a4c3d2
	;; [unrolled: 1-line block ×4, first 2 shown]
	v_add_f64 v[126:127], v[28:29], v[64:65]
	v_add_f64 v[124:125], v[30:31], v[66:67]
	v_fma_f64 v[0:1], v[116:117], s[6:7], v[76:77]
	v_fma_f64 v[2:3], v[120:121], s[6:7], -v[78:79]
	v_mul_f64 v[80:81], v[74:75], s[20:21]
	v_mul_f64 v[82:83], v[175:176], s[20:21]
	v_add_f64 v[181:182], v[34:35], -v[62:63]
	v_add_f64 v[177:178], v[32:33], -v[60:61]
	s_mov_b32 s4, 0x1ea71119
	s_mov_b32 s26, 0x66966769
	s_mov_b32 s5, 0x3fe22d96
	s_mov_b32 s27, 0xbfefc445
	v_add_f64 v[0:1], v[20:21], v[0:1]
	v_add_f64 v[2:3], v[22:23], v[2:3]
	v_fma_f64 v[4:5], v[126:127], s[4:5], v[80:81]
	v_fma_f64 v[6:7], v[124:125], s[4:5], -v[82:83]
	v_add_f64 v[128:129], v[32:33], v[60:61]
	v_add_f64 v[134:135], v[34:35], v[62:63]
	v_mul_f64 v[84:85], v[181:182], s[26:27]
	v_mul_f64 v[86:87], v[177:178], s[26:27]
	v_add_f64 v[185:186], v[38:39], -v[58:59]
	v_add_f64 v[179:180], v[36:37], -v[56:57]
	s_mov_b32 s8, 0xebaa3ed8
	s_mov_b32 s28, 0x2ef20147
	;; [unrolled: 1-line block ×4, first 2 shown]
	v_add_f64 v[0:1], v[4:5], v[0:1]
	v_add_f64 v[2:3], v[6:7], v[2:3]
	v_fma_f64 v[4:5], v[128:129], s[8:9], v[84:85]
	v_add_f64 v[132:133], v[36:37], v[56:57]
	v_mul_f64 v[88:89], v[185:186], s[28:29]
	v_fma_f64 v[6:7], v[134:135], s[8:9], -v[86:87]
	v_add_f64 v[199:200], v[42:43], -v[54:55]
	v_add_f64 v[157:158], v[38:39], v[58:59]
	v_mul_f64 v[90:91], v[179:180], s[28:29]
	v_add_f64 v[183:184], v[40:41], -v[52:53]
	s_mov_b32 s10, 0xb2365da1
	s_mov_b32 s30, 0x24c2f84
	;; [unrolled: 1-line block ×4, first 2 shown]
	v_add_f64 v[0:1], v[4:5], v[0:1]
	v_fma_f64 v[4:5], v[132:133], s[10:11], v[88:89]
	v_add_f64 v[149:150], v[40:41], v[52:53]
	v_mul_f64 v[92:93], v[199:200], s[30:31]
	v_add_f64 v[2:3], v[6:7], v[2:3]
	v_fma_f64 v[6:7], v[157:158], s[10:11], -v[90:91]
	v_add_f64 v[153:154], v[42:43], v[54:55]
	v_mul_f64 v[94:95], v[183:184], s[30:31]
	s_mov_b32 s16, 0xd0032e0c
	s_mov_b32 s17, 0xbfe7f3cc
	v_add_f64 v[0:1], v[4:5], v[0:1]
	v_fma_f64 v[4:5], v[149:150], s[16:17], v[92:93]
	v_mul_f64 v[100:101], v[72:73], s[20:21]
	v_add_f64 v[2:3], v[6:7], v[2:3]
	v_mul_f64 v[140:141], v[159:160], s[20:21]
	v_fma_f64 v[6:7], v[153:154], s[16:17], -v[94:95]
	v_add_f64 v[215:216], v[46:47], -v[50:51]
	v_add_f64 v[211:212], v[44:45], -v[48:49]
	s_mov_b32 s34, 0x4bc48dbf
	s_mov_b32 s35, 0xbfcea1e5
	v_add_f64 v[0:1], v[4:5], v[0:1]
	v_fma_f64 v[4:5], v[116:117], s[4:5], v[100:101]
	v_mul_f64 v[102:103], v[74:75], s[28:29]
	v_add_f64 v[2:3], v[6:7], v[2:3]
	v_fma_f64 v[6:7], v[120:121], s[4:5], -v[140:141]
	v_mul_f64 v[108:109], v[175:176], s[28:29]
	v_add_f64 v[167:168], v[44:45], v[48:49]
	v_mul_f64 v[96:97], v[215:216], s[34:35]
	v_add_f64 v[169:170], v[46:47], v[50:51]
	v_mul_f64 v[98:99], v[211:212], s[34:35]
	s_mov_b32 s22, 0x93053d00
	s_mov_b32 s23, 0xbfef11f4
	v_add_f64 v[4:5], v[20:21], v[4:5]
	v_fma_f64 v[8:9], v[126:127], s[10:11], v[102:103]
	v_add_f64 v[6:7], v[22:23], v[6:7]
	v_fma_f64 v[10:11], v[124:125], s[10:11], -v[108:109]
	v_mul_f64 v[104:105], v[181:182], s[34:35]
	v_mul_f64 v[112:113], v[177:178], s[34:35]
	v_fma_f64 v[12:13], v[167:168], s[22:23], v[96:97]
	v_fma_f64 v[14:15], v[169:170], s[22:23], -v[98:99]
	v_mul_f64 v[130:131], v[72:73], s[26:27]
	v_mul_f64 v[173:174], v[159:160], s[26:27]
	s_mov_b32 s39, 0x3fe5384d
	s_mov_b32 s38, s30
	v_add_f64 v[4:5], v[8:9], v[4:5]
	v_add_f64 v[6:7], v[10:11], v[6:7]
	v_fma_f64 v[8:9], v[128:129], s[22:23], v[104:105]
	v_fma_f64 v[10:11], v[134:135], s[22:23], -v[112:113]
	v_mul_f64 v[106:107], v[185:186], s[38:39]
	v_mul_f64 v[114:115], v[179:180], s[38:39]
	v_add_f64 v[0:1], v[12:13], v[0:1]
	v_add_f64 v[2:3], v[14:15], v[2:3]
	v_fma_f64 v[12:13], v[116:117], s[8:9], v[130:131]
	v_mul_f64 v[138:139], v[74:75], s[34:35]
	v_fma_f64 v[14:15], v[120:121], s[8:9], -v[173:174]
	v_mul_f64 v[171:172], v[175:176], s[34:35]
	s_mov_b32 s37, 0x3fefc445
	s_mov_b32 s36, s26
	;; [unrolled: 1-line block ×4, first 2 shown]
	v_add_f64 v[4:5], v[8:9], v[4:5]
	v_add_f64 v[6:7], v[10:11], v[6:7]
	v_fma_f64 v[8:9], v[132:133], s[16:17], v[106:107]
	v_fma_f64 v[10:11], v[157:158], s[16:17], -v[114:115]
	v_mul_f64 v[110:111], v[199:200], s[36:37]
	v_mul_f64 v[122:123], v[183:184], s[36:37]
	v_add_f64 v[12:13], v[20:21], v[12:13]
	v_fma_f64 v[16:17], v[126:127], s[22:23], v[138:139]
	v_add_f64 v[14:15], v[22:23], v[14:15]
	v_fma_f64 v[18:19], v[124:125], s[22:23], -v[171:172]
	v_mul_f64 v[142:143], v[181:182], s[42:43]
	v_mul_f64 v[151:152], v[177:178], s[42:43]
	s_mov_b32 s41, 0x3fddbe06
	s_mov_b32 s40, s24
	v_add_f64 v[4:5], v[8:9], v[4:5]
	v_add_f64 v[6:7], v[10:11], v[6:7]
	v_fma_f64 v[8:9], v[149:150], s[8:9], v[110:111]
	v_fma_f64 v[10:11], v[153:154], s[8:9], -v[122:123]
	v_mul_f64 v[118:119], v[215:216], s[40:41]
	v_mul_f64 v[136:137], v[211:212], s[40:41]
	v_add_f64 v[12:13], v[16:17], v[12:13]
	v_add_f64 v[14:15], v[18:19], v[14:15]
	v_fma_f64 v[16:17], v[128:129], s[10:11], v[142:143]
	v_mul_f64 v[144:145], v[185:186], s[40:41]
	v_fma_f64 v[18:19], v[134:135], s[10:11], -v[151:152]
	v_mul_f64 v[155:156], v[179:180], s[40:41]
	v_add_f64 v[4:5], v[8:9], v[4:5]
	v_add_f64 v[6:7], v[10:11], v[6:7]
	v_fma_f64 v[8:9], v[167:168], s[6:7], v[118:119]
	v_fma_f64 v[10:11], v[169:170], s[6:7], -v[136:137]
	v_add_f64 v[12:13], v[16:17], v[12:13]
	v_fma_f64 v[16:17], v[132:133], s[6:7], v[144:145]
	v_add_f64 v[14:15], v[18:19], v[14:15]
	v_fma_f64 v[18:19], v[157:158], s[6:7], -v[155:156]
	v_mul_f64 v[146:147], v[199:200], s[20:21]
	v_mul_f64 v[161:162], v[183:184], s[20:21]
	;; [unrolled: 1-line block ×4, first 2 shown]
	buffer_store_dword v0, off, s[48:51], 0 ; 4-byte Folded Spill
	s_nop 0
	buffer_store_dword v1, off, s[48:51], 0 offset:4 ; 4-byte Folded Spill
	buffer_store_dword v2, off, s[48:51], 0 offset:8 ; 4-byte Folded Spill
	;; [unrolled: 1-line block ×3, first 2 shown]
	v_add_f64 v[0:1], v[8:9], v[4:5]
	v_add_f64 v[2:3], v[10:11], v[6:7]
	;; [unrolled: 1-line block ×4, first 2 shown]
	v_fma_f64 v[12:13], v[149:150], s[4:5], v[146:147]
	v_fma_f64 v[14:15], v[153:154], s[4:5], -v[161:162]
	v_mul_f64 v[163:164], v[215:216], s[30:31]
	v_mul_f64 v[165:166], v[211:212], s[30:31]
	v_fma_f64 v[16:17], v[116:117], s[10:11], v[191:192]
	v_mul_f64 v[187:188], v[74:75], s[38:39]
	v_fma_f64 v[18:19], v[120:121], s[10:11], -v[205:206]
	v_mul_f64 v[203:204], v[175:176], s[38:39]
	v_add_f64 v[8:9], v[12:13], v[8:9]
	v_add_f64 v[10:11], v[14:15], v[10:11]
	v_fma_f64 v[12:13], v[167:168], s[16:17], v[163:164]
	v_fma_f64 v[14:15], v[169:170], s[16:17], -v[165:166]
	v_add_f64 v[16:17], v[20:21], v[16:17]
	v_fma_f64 v[193:194], v[126:127], s[16:17], v[187:188]
	v_add_f64 v[18:19], v[22:23], v[18:19]
	v_fma_f64 v[195:196], v[124:125], s[16:17], -v[203:204]
	v_mul_f64 v[223:224], v[72:73], s[30:31]
	v_mul_f64 v[239:240], v[159:160], s[30:31]
	v_add_f64 v[8:9], v[12:13], v[8:9]
	v_add_f64 v[10:11], v[14:15], v[10:11]
	v_mul_f64 v[225:226], v[74:75], s[36:37]
	v_add_f64 v[12:13], v[193:194], v[16:17]
	v_mul_f64 v[237:238], v[175:176], s[36:37]
	v_add_f64 v[14:15], v[195:196], v[18:19]
	v_fma_f64 v[193:194], v[116:117], s[16:17], v[223:224]
	v_fma_f64 v[195:196], v[120:121], s[16:17], -v[239:240]
	v_mul_f64 v[189:190], v[181:182], s[40:41]
	v_mul_f64 v[201:202], v[177:178], s[40:41]
	v_fma_f64 v[217:218], v[126:127], s[8:9], v[225:226]
	v_mul_f64 v[221:222], v[181:182], s[20:21]
	v_fma_f64 v[219:220], v[124:125], s[8:9], -v[237:238]
	v_mul_f64 v[235:236], v[177:178], s[20:21]
	v_add_f64 v[209:210], v[20:21], v[193:194]
	v_add_f64 v[195:196], v[22:23], v[195:196]
	s_mov_b32 s47, 0x3fcea1e5
	s_mov_b32 s46, s34
	v_fma_f64 v[16:17], v[128:129], s[6:7], v[189:190]
	v_fma_f64 v[18:19], v[134:135], s[6:7], -v[201:202]
	v_mul_f64 v[197:198], v[185:186], s[26:27]
	v_mul_f64 v[213:214], v[179:180], s[26:27]
	v_add_f64 v[209:210], v[217:218], v[209:210]
	v_add_f64 v[195:196], v[219:220], v[195:196]
	v_fma_f64 v[217:218], v[128:129], s[4:5], v[221:222]
	v_fma_f64 v[227:228], v[134:135], s[4:5], -v[235:236]
	v_mul_f64 v[219:220], v[185:186], s[46:47]
	v_mul_f64 v[233:234], v[179:180], s[46:47]
	v_add_f64 v[12:13], v[16:17], v[12:13]
	v_add_f64 v[14:15], v[18:19], v[14:15]
	v_fma_f64 v[16:17], v[132:133], s[8:9], v[197:198]
	v_fma_f64 v[18:19], v[157:158], s[8:9], -v[213:214]
	v_mul_f64 v[193:194], v[199:200], s[46:47]
	v_mul_f64 v[207:208], v[183:184], s[46:47]
	v_add_f64 v[229:230], v[217:218], v[209:210]
	v_add_f64 v[227:228], v[227:228], v[195:196]
	v_fma_f64 v[244:245], v[132:133], s[22:23], v[219:220]
	v_fma_f64 v[246:247], v[157:158], s[22:23], -v[233:234]
	v_mul_f64 v[217:218], v[199:200], s[40:41]
	v_mul_f64 v[231:232], v[183:184], s[40:41]
	s_mov_b32 s45, 0x3fea55e2
	s_mov_b32 s44, s20
	v_add_f64 v[12:13], v[16:17], v[12:13]
	v_add_f64 v[14:15], v[18:19], v[14:15]
	v_fma_f64 v[16:17], v[149:150], s[22:23], v[193:194]
	v_fma_f64 v[18:19], v[153:154], s[22:23], -v[207:208]
	v_mul_f64 v[195:196], v[215:216], s[44:45]
	v_mul_f64 v[209:210], v[211:212], s[44:45]
	v_add_f64 v[244:245], v[244:245], v[229:230]
	v_add_f64 v[246:247], v[246:247], v[227:228]
	v_fma_f64 v[248:249], v[149:150], s[6:7], v[217:218]
	v_fma_f64 v[250:251], v[153:154], s[6:7], -v[231:232]
	v_mul_f64 v[227:228], v[215:216], s[28:29]
	v_mul_f64 v[229:230], v[211:212], s[28:29]
	v_add_f64 v[12:13], v[16:17], v[12:13]
	v_add_f64 v[14:15], v[18:19], v[14:15]
	v_fma_f64 v[16:17], v[167:168], s[4:5], v[195:196]
	v_fma_f64 v[18:19], v[169:170], s[4:5], -v[209:210]
	v_add_f64 v[244:245], v[248:249], v[244:245]
	v_add_f64 v[246:247], v[250:251], v[246:247]
	v_fma_f64 v[248:249], v[167:168], s[10:11], v[227:228]
	v_fma_f64 v[250:251], v[169:170], s[10:11], -v[229:230]
	v_mul_lo_u16_e32 v148, 13, v242
	buffer_store_dword v0, off, s[48:51], 0 offset:16 ; 4-byte Folded Spill
	s_nop 0
	buffer_store_dword v1, off, s[48:51], 0 offset:20 ; 4-byte Folded Spill
	buffer_store_dword v2, off, s[48:51], 0 offset:24 ; 4-byte Folded Spill
	;; [unrolled: 1-line block ×3, first 2 shown]
	v_add_f64 v[16:17], v[16:17], v[12:13]
	v_add_f64 v[18:19], v[18:19], v[14:15]
	s_waitcnt vmcnt(0)
	s_barrier
	v_add_f64 v[12:13], v[248:249], v[244:245]
	v_add_f64 v[14:15], v[250:251], v[246:247]
	s_and_saveexec_b64 s[18:19], vcc
	s_cbranch_execz .LBB0_7
; %bb.6:
	v_mul_f64 v[245:246], v[120:121], s[22:23]
	v_mul_f64 v[247:248], v[124:125], s[6:7]
	v_mov_b32_e32 v0, v252
	v_mul_f64 v[251:252], v[72:73], s[34:35]
	v_mul_f64 v[253:254], v[74:75], s[40:41]
	;; [unrolled: 1-line block ×3, first 2 shown]
	v_mov_b32_e32 v1, v76
	v_mov_b32_e32 v2, v77
	v_fma_f64 v[249:250], v[159:160], s[46:47], v[245:246]
	v_fma_f64 v[72:73], v[175:176], s[24:25], v[247:248]
	v_mov_b32_e32 v3, v78
	v_fma_f64 v[74:75], v[116:117], s[22:23], v[251:252]
	v_mov_b32_e32 v4, v79
	v_mov_b32_e32 v5, v80
	;; [unrolled: 1-line block ×3, first 2 shown]
	v_mul_f64 v[80:81], v[169:170], s[8:9]
	v_add_f64 v[249:250], v[22:23], v[249:250]
	v_mul_f64 v[215:216], v[215:216], s[36:37]
	v_fma_f64 v[159:160], v[159:160], s[34:35], v[245:246]
	v_add_f64 v[74:75], v[20:21], v[74:75]
	v_fma_f64 v[175:176], v[175:176], s[40:41], v[247:248]
	v_mul_f64 v[245:246], v[116:117], s[6:7]
	v_add_f64 v[26:27], v[22:23], v[26:27]
	v_add_f64 v[24:25], v[20:21], v[24:25]
	;; [unrolled: 1-line block ×3, first 2 shown]
	v_fma_f64 v[249:250], v[126:127], s[6:7], v[253:254]
	v_add_f64 v[159:160], v[22:23], v[159:160]
	v_mul_f64 v[247:248], v[157:158], s[10:11]
	v_add_f64 v[26:27], v[26:27], v[30:31]
	v_add_f64 v[24:25], v[24:25], v[28:29]
	;; [unrolled: 1-line block ×3, first 2 shown]
	v_mul_f64 v[249:250], v[134:135], s[16:17]
	v_add_f64 v[159:160], v[175:176], v[159:160]
	v_mul_f64 v[175:176], v[120:121], s[16:17]
	v_add_f64 v[26:27], v[26:27], v[34:35]
	v_add_f64 v[24:25], v[24:25], v[32:33]
	v_fma_f64 v[243:244], v[177:178], s[38:39], v[249:250]
	v_fma_f64 v[177:178], v[177:178], s[30:31], v[249:250]
	v_add_f64 v[175:176], v[239:240], v[175:176]
	v_mul_f64 v[239:240], v[124:125], s[8:9]
	v_add_f64 v[26:27], v[26:27], v[38:39]
	v_add_f64 v[24:25], v[24:25], v[36:37]
	v_mul_f64 v[249:250], v[169:170], s[6:7]
	v_add_f64 v[72:73], v[243:244], v[72:73]
	v_fma_f64 v[243:244], v[128:129], s[16:17], v[181:182]
	v_add_f64 v[159:160], v[177:178], v[159:160]
	v_fma_f64 v[181:182], v[128:129], s[16:17], -v[181:182]
	v_add_f64 v[237:238], v[237:238], v[239:240]
	v_add_f64 v[175:176], v[22:23], v[175:176]
	v_mul_f64 v[177:178], v[116:117], s[4:5]
	v_mul_f64 v[239:240], v[120:121], s[8:9]
	v_add_f64 v[26:27], v[26:27], v[42:43]
	v_add_f64 v[74:75], v[243:244], v[74:75]
	v_mul_f64 v[243:244], v[157:158], s[4:5]
	v_add_f64 v[24:25], v[24:25], v[40:41]
	v_add_f64 v[175:176], v[237:238], v[175:176]
	;; [unrolled: 3-line block ×3, first 2 shown]
	v_mul_f64 v[239:240], v[167:168], s[16:17]
	v_fma_f64 v[76:77], v[179:180], s[20:21], v[243:244]
	v_fma_f64 v[179:180], v[179:180], s[44:45], v[243:244]
	v_mul_f64 v[243:244], v[120:121], s[6:7]
	v_add_f64 v[24:25], v[24:25], v[44:45]
	v_add_f64 v[44:45], v[177:178], -v[100:101]
	v_add_f64 v[26:27], v[26:27], v[50:51]
	v_add_f64 v[40:41], v[239:240], -v[163:164]
	v_add_f64 v[72:73], v[76:77], v[72:73]
	v_mul_f64 v[76:77], v[185:186], s[44:45]
	v_add_f64 v[159:160], v[179:180], v[159:160]
	v_mul_f64 v[179:180], v[134:135], s[4:5]
	v_add_f64 v[24:25], v[24:25], v[48:49]
	v_add_f64 v[26:27], v[26:27], v[54:55]
	v_fma_f64 v[185:186], v[132:133], s[4:5], v[76:77]
	v_fma_f64 v[76:77], v[132:133], s[4:5], -v[76:77]
	v_add_f64 v[179:180], v[235:236], v[179:180]
	v_mul_f64 v[235:236], v[157:158], s[22:23]
	v_add_f64 v[24:25], v[24:25], v[52:53]
	v_add_f64 v[26:27], v[26:27], v[58:59]
	;; [unrolled: 1-line block ×4, first 2 shown]
	v_mul_f64 v[185:186], v[153:154], s[10:11]
	v_add_f64 v[175:176], v[179:180], v[175:176]
	v_add_f64 v[233:234], v[233:234], v[235:236]
	v_mul_f64 v[179:180], v[126:127], s[8:9]
	v_mul_f64 v[235:236], v[126:127], s[10:11]
	v_add_f64 v[24:25], v[24:25], v[56:57]
	v_add_f64 v[26:27], v[26:27], v[62:63]
	v_fma_f64 v[78:79], v[183:184], s[42:43], v[185:186]
	v_fma_f64 v[183:184], v[183:184], s[28:29], v[185:186]
	v_mul_f64 v[185:186], v[116:117], s[8:9]
	v_add_f64 v[175:176], v[233:234], v[175:176]
	v_add_f64 v[179:180], v[179:180], -v[225:226]
	v_mul_f64 v[225:226], v[128:129], s[4:5]
	v_mul_f64 v[233:234], v[124:125], s[22:23]
	v_add_f64 v[46:47], v[235:236], -v[102:103]
	v_add_f64 v[72:73], v[78:79], v[72:73]
	v_mul_f64 v[78:79], v[199:200], s[28:29]
	v_add_f64 v[159:160], v[183:184], v[159:160]
	v_mul_f64 v[183:184], v[153:154], s[6:7]
	v_add_f64 v[130:131], v[185:186], -v[130:131]
	v_add_f64 v[221:222], v[225:226], -v[221:222]
	v_mul_f64 v[225:226], v[128:129], s[8:9]
	v_add_f64 v[24:25], v[24:25], v[60:61]
	v_add_f64 v[56:57], v[26:27], v[66:67]
	v_fma_f64 v[199:200], v[149:150], s[10:11], v[78:79]
	v_fma_f64 v[78:79], v[149:150], s[10:11], -v[78:79]
	v_add_f64 v[183:184], v[231:232], v[183:184]
	v_mul_f64 v[231:232], v[169:170], s[10:11]
	v_add_f64 v[130:131], v[20:21], v[130:131]
	v_add_f64 v[50:51], v[225:226], -v[84:85]
	v_add_f64 v[24:25], v[24:25], v[64:65]
	v_add_f64 v[199:200], v[199:200], v[74:75]
	v_fma_f64 v[74:75], v[211:212], s[26:27], v[80:81]
	v_fma_f64 v[80:81], v[211:212], s[36:37], v[80:81]
	v_fma_f64 v[211:212], v[126:127], s[6:7], -v[253:254]
	v_add_f64 v[229:230], v[229:230], v[231:232]
	v_mul_f64 v[231:232], v[167:168], s[10:11]
	v_add_f64 v[175:176], v[183:184], v[175:176]
	v_mul_f64 v[183:184], v[132:133], s[22:23]
	v_add_f64 v[74:75], v[74:75], v[72:73]
	v_fma_f64 v[72:73], v[167:168], s[8:9], v[215:216]
	v_fma_f64 v[215:216], v[167:168], s[8:9], -v[215:216]
	v_add_f64 v[227:228], v[231:232], -v[227:228]
	v_mul_f64 v[231:232], v[149:150], s[6:7]
	v_add_f64 v[183:184], v[183:184], -v[219:220]
	v_mul_f64 v[219:220], v[134:135], s[22:23]
	v_add_f64 v[72:73], v[72:73], v[199:200]
	v_fma_f64 v[199:200], v[116:117], s[22:23], -v[251:252]
	v_mov_b32_e32 v252, v0
	v_lshlrev_b32_e32 v0, 4, v148
	v_add_f64 v[217:218], v[231:232], -v[217:218]
	v_mul_f64 v[231:232], v[157:158], s[8:9]
	v_add_f64 v[112:113], v[112:113], v[219:220]
	v_add_f64 v[199:200], v[20:21], v[199:200]
	;; [unrolled: 1-line block ×3, first 2 shown]
	v_mul_f64 v[211:212], v[120:121], s[4:5]
	v_mul_f64 v[120:121], v[120:121], s[10:11]
	v_add_f64 v[181:182], v[181:182], v[199:200]
	v_mul_f64 v[199:200], v[116:117], s[10:11]
	v_mul_f64 v[116:117], v[116:117], s[16:17]
	v_add_f64 v[120:121], v[205:206], v[120:121]
	v_mul_f64 v[205:206], v[128:129], s[22:23]
	v_add_f64 v[140:141], v[140:141], v[211:212]
	v_add_f64 v[76:77], v[76:77], v[181:182]
	v_mul_f64 v[181:182], v[124:125], s[4:5]
	v_add_f64 v[116:117], v[116:117], -v[223:224]
	v_add_f64 v[120:121], v[22:23], v[120:121]
	v_mul_f64 v[223:224], v[126:127], s[22:23]
	v_mul_f64 v[126:127], v[126:127], s[16:17]
	v_add_f64 v[191:192], v[199:200], -v[191:192]
	v_mul_f64 v[199:200], v[132:133], s[6:7]
	v_add_f64 v[76:77], v[78:79], v[76:77]
	v_mul_f64 v[78:79], v[124:125], s[10:11]
	v_add_f64 v[116:117], v[20:21], v[116:117]
	v_mul_f64 v[124:125], v[124:125], s[16:17]
	v_add_f64 v[30:31], v[223:224], -v[138:139]
	v_add_f64 v[82:83], v[82:83], v[181:182]
	v_add_f64 v[38:39], v[199:200], -v[144:145]
	v_add_f64 v[78:79], v[108:109], v[78:79]
	v_add_f64 v[116:117], v[179:180], v[116:117]
	;; [unrolled: 1-line block ×3, first 2 shown]
	v_mul_f64 v[203:204], v[128:129], s[10:11]
	v_mul_f64 v[128:129], v[128:129], s[6:7]
	;; [unrolled: 1-line block ×3, first 2 shown]
	v_add_f64 v[108:109], v[22:23], v[140:141]
	v_add_f64 v[30:31], v[30:31], v[130:131]
	;; [unrolled: 1-line block ×3, first 2 shown]
	v_mul_f64 v[221:222], v[134:135], s[6:7]
	v_add_f64 v[120:121], v[124:125], v[120:121]
	v_add_f64 v[124:125], v[213:214], v[231:232]
	v_mul_f64 v[231:232], v[149:150], s[16:17]
	v_mul_f64 v[134:135], v[134:135], s[10:11]
	;; [unrolled: 1-line block ×4, first 2 shown]
	v_add_f64 v[116:117], v[183:184], v[116:117]
	v_add_f64 v[201:202], v[201:202], v[221:222]
	v_mul_f64 v[221:222], v[132:133], s[10:11]
	v_mul_f64 v[183:184], v[132:133], s[16:17]
	;; [unrolled: 1-line block ×3, first 2 shown]
	v_add_f64 v[78:79], v[78:79], v[108:109]
	v_add_f64 v[34:35], v[203:204], -v[142:143]
	v_add_f64 v[28:29], v[155:156], v[157:158]
	v_add_f64 v[217:218], v[217:218], v[116:117]
	;; [unrolled: 1-line block ×3, first 2 shown]
	v_add_f64 v[116:117], v[126:127], -v[187:188]
	v_add_f64 v[126:127], v[20:21], v[191:192]
	v_mul_f64 v[201:202], v[153:154], s[22:23]
	v_add_f64 v[132:133], v[132:133], -v[197:198]
	v_mul_f64 v[187:188], v[153:154], s[16:17]
	v_add_f64 v[108:109], v[114:115], v[213:214]
	v_add_f64 v[78:79], v[112:113], v[78:79]
	;; [unrolled: 1-line block ×3, first 2 shown]
	v_add_f64 v[124:125], v[128:129], -v[189:190]
	v_add_f64 v[116:117], v[116:117], v[126:127]
	v_add_f64 v[191:192], v[207:208], v[201:202]
	v_mul_f64 v[207:208], v[149:150], s[8:9]
	v_mul_f64 v[126:127], v[149:150], s[4:5]
	;; [unrolled: 1-line block ×5, first 2 shown]
	v_add_f64 v[30:31], v[34:35], v[30:31]
	v_add_f64 v[124:125], v[124:125], v[116:117]
	;; [unrolled: 1-line block ×5, first 2 shown]
	v_add_f64 v[80:81], v[149:150], -v[193:194]
	v_add_f64 v[149:150], v[171:172], v[233:234]
	v_add_f64 v[32:33], v[161:162], v[153:154]
	;; [unrolled: 1-line block ×5, first 2 shown]
	v_mul_f64 v[201:202], v[169:170], s[4:5]
	v_mul_f64 v[197:198], v[167:168], s[6:7]
	v_add_f64 v[42:43], v[126:127], -v[146:147]
	v_add_f64 v[30:31], v[38:39], v[30:31]
	v_add_f64 v[38:39], v[136:137], v[249:250]
	;; [unrolled: 1-line block ×6, first 2 shown]
	v_add_f64 v[78:79], v[237:238], -v[5:6]
	v_add_f64 v[189:190], v[209:210], v[201:202]
	v_mul_f64 v[201:202], v[167:168], s[22:23]
	v_mul_f64 v[209:210], v[169:170], s[22:23]
	v_add_f64 v[22:23], v[82:83], v[22:23]
	v_mul_f64 v[169:170], v[169:170], s[16:17]
	v_mul_f64 v[167:168], v[167:168], s[4:5]
	v_add_f64 v[132:133], v[132:133], v[134:135]
	v_add_f64 v[42:43], v[42:43], v[30:31]
	;; [unrolled: 1-line block ×3, first 2 shown]
	v_add_f64 v[54:55], v[201:202], -v[96:97]
	v_add_f64 v[120:121], v[229:230], v[175:176]
	v_add_f64 v[22:23], v[48:49], v[22:23]
	v_add_f64 v[48:49], v[221:222], -v[88:89]
	v_add_f64 v[36:37], v[165:166], v[169:170]
	v_add_f64 v[28:29], v[28:29], v[132:133]
	;; [unrolled: 3-line block ×3, first 2 shown]
	v_add_f64 v[22:23], v[52:53], v[22:23]
	v_add_f64 v[52:53], v[231:232], -v[92:93]
	v_add_f64 v[28:29], v[32:33], v[28:29]
	v_add_f64 v[32:33], v[122:123], v[128:129]
	;; [unrolled: 1-line block ×4, first 2 shown]
	v_add_f64 v[34:35], v[245:246], -v[1:2]
	v_add_f64 v[26:27], v[38:39], v[32:33]
	v_add_f64 v[34:35], v[20:21], v[34:35]
	v_add_f64 v[20:21], v[20:21], v[44:45]
	v_add_f64 v[44:45], v[205:206], -v[104:105]
	v_add_f64 v[32:33], v[24:25], v[68:69]
	v_add_f64 v[34:35], v[78:79], v[34:35]
	v_add_f64 v[20:21], v[46:47], v[20:21]
	;; [unrolled: 4-line block ×4, first 2 shown]
	v_add_f64 v[50:51], v[50:51], v[22:23]
	v_add_f64 v[46:47], v[197:198], -v[118:119]
	v_add_f64 v[22:23], v[36:37], v[28:29]
	v_add_f64 v[118:119], v[227:228], v[217:218]
	;; [unrolled: 1-line block ×9, first 2 shown]
	ds_write_b128 v0, v[32:35]
	ds_write_b128 v0, v[28:31] offset:16
	ds_write_b128 v0, v[24:27] offset:32
	;; [unrolled: 1-line block ×10, first 2 shown]
	buffer_load_dword v1, off, s[48:51], 0 offset:16 ; 4-byte Folded Reload
	buffer_load_dword v2, off, s[48:51], 0 offset:20 ; 4-byte Folded Reload
	buffer_load_dword v3, off, s[48:51], 0 offset:24 ; 4-byte Folded Reload
	buffer_load_dword v4, off, s[48:51], 0 offset:28 ; 4-byte Folded Reload
	s_waitcnt vmcnt(0)
	ds_write_b128 v0, v[1:4] offset:176
	buffer_load_dword v1, off, s[48:51], 0  ; 4-byte Folded Reload
	buffer_load_dword v2, off, s[48:51], 0 offset:4 ; 4-byte Folded Reload
	buffer_load_dword v3, off, s[48:51], 0 offset:8 ; 4-byte Folded Reload
	;; [unrolled: 1-line block ×3, first 2 shown]
	s_waitcnt vmcnt(0)
	ds_write_b128 v0, v[1:4] offset:192
.LBB0_7:
	s_or_b64 exec, exec, s[18:19]
	s_load_dwordx4 s[4:7], s[0:1], 0x0
	s_movk_i32 s0, 0x4f
	v_mul_lo_u16_sdwa v0, v242, s0 dst_sel:DWORD dst_unused:UNUSED_PAD src0_sel:BYTE_0 src1_sel:DWORD
	v_add_u16_e32 v52, 0x68, v242
	v_lshrrev_b16_e32 v1, 10, v0
	v_mul_lo_u16_sdwa v53, v52, s0 dst_sel:DWORD dst_unused:UNUSED_PAD src0_sel:BYTE_0 src1_sel:DWORD
	v_mul_lo_u16_e32 v2, 13, v1
	v_lshrrev_b16_e32 v4, 10, v53
	v_sub_u16_e32 v2, v242, v2
	v_mul_lo_u16_e32 v5, 13, v4
	v_add_u32_e32 v72, 0xd0, v242
	v_and_b32_e32 v2, 0xff, v2
	v_sub_u16_e32 v5, v52, v5
	s_movk_i32 s0, 0x4ec5
	v_lshlrev_b32_e32 v3, 4, v2
	v_and_b32_e32 v5, 0xff, v5
	v_mul_u32_u24_sdwa v68, v72, s0 dst_sel:DWORD dst_unused:UNUSED_PAD src0_sel:WORD_0 src1_sel:DWORD
	s_waitcnt lgkmcnt(0)
	s_barrier
	v_add_u32_e32 v73, 0x138, v242
	v_lshlrev_b32_e32 v6, 4, v5
	global_load_dwordx4 v[157:160], v3, s[2:3]
	global_load_dwordx4 v[153:156], v6, s[2:3]
	v_lshrrev_b32_e32 v3, 18, v68
	v_mul_lo_u16_e32 v6, 13, v3
	v_mul_u32_u24_sdwa v69, v73, s0 dst_sel:DWORD dst_unused:UNUSED_PAD src0_sel:WORD_0 src1_sel:DWORD
	v_sub_u16_e32 v6, v72, v6
	v_lshrrev_b32_e32 v66, 18, v69
	v_lshlrev_b32_e32 v7, 4, v6
	v_mul_lo_u16_e32 v28, 13, v66
	v_sub_u16_e32 v67, v73, v28
	global_load_dwordx4 v[161:164], v7, s[2:3]
	v_lshlrev_b32_e32 v7, 4, v67
	global_load_dwordx4 v[32:35], v7, s[2:3]
	v_mov_b32_e32 v7, 4
	v_lshlrev_b32_sdwa v197, v7, v242 dst_sel:DWORD dst_unused:UNUSED_PAD src0_sel:DWORD src1_sel:WORD_0
	v_lshrrev_b16_e32 v0, 11, v0
	v_lshrrev_b16_e32 v7, 11, v53
	v_mul_lo_u16_e32 v70, 26, v0
	v_mul_lo_u16_e32 v71, 26, v7
	ds_read_b128 v[36:39], v197
	ds_read_b128 v[40:43], v197 offset:1664
	ds_read_b128 v[44:47], v197 offset:6656
	;; [unrolled: 1-line block ×7, first 2 shown]
	v_lshrrev_b32_e32 v90, 19, v68
	v_lshrrev_b32_e32 v91, 19, v69
	v_sub_u16_e32 v70, v242, v70
	v_sub_u16_e32 v71, v52, v71
	v_mul_lo_u16_e32 v78, 26, v90
	v_mul_lo_u16_e32 v79, 26, v91
	v_mad_legacy_u16 v3, v3, 26, v6
	v_mad_legacy_u16 v6, v66, 26, v67
	v_and_b32_e32 v94, 0xff, v70
	v_and_b32_e32 v95, 0xff, v71
	v_sub_u16_e32 v92, v72, v78
	v_sub_u16_e32 v93, v73, v79
	v_mul_u32_u24_e32 v1, 26, v1
	v_mul_u32_u24_e32 v4, 26, v4
	v_add_lshl_u32 v168, v1, v2, 4
	v_lshlrev_b32_e32 v1, 4, v94
	v_add_lshl_u32 v167, v4, v5, 4
	v_lshlrev_b32_e32 v166, 4, v3
	v_lshlrev_b32_e32 v165, 4, v6
	s_waitcnt vmcnt(0) lgkmcnt(0)
	s_barrier
	s_movk_i32 s0, 0xffcc
	v_mul_u32_u24_e32 v0, 52, v0
	v_mul_u32_u24_e32 v4, 52, v7
	v_add_lshl_u32 v172, v0, v94, 4
	v_add_lshl_u32 v171, v4, v95, 4
	v_lshrrev_b32_e32 v3, 20, v69
	v_mul_lo_u16_e32 v7, 52, v3
	v_sub_u16_e32 v7, v73, v7
	v_lshrrev_b32_e32 v69, 21, v69
	v_mul_lo_u16_e32 v119, 0x68, v69
	s_movk_i32 s8, 0x68
	v_lshlrev_b32_e32 v4, 4, v242
	v_mad_legacy_u16 v3, v3, s8, v7
	v_lshlrev_b32_e32 v173, 4, v3
	v_mul_f64 v[66:67], v[46:47], v[159:160]
	v_mul_f64 v[70:71], v[44:45], v[159:160]
	;; [unrolled: 1-line block ×4, first 2 shown]
	v_fma_f64 v[44:45], v[44:45], v[157:158], -v[66:67]
	v_fma_f64 v[46:47], v[46:47], v[157:158], v[70:71]
	v_mul_f64 v[82:83], v[64:65], v[163:164]
	v_mul_f64 v[84:85], v[62:63], v[163:164]
	;; [unrolled: 1-line block ×4, first 2 shown]
	v_fma_f64 v[48:49], v[48:49], v[153:154], -v[78:79]
	v_fma_f64 v[50:51], v[50:51], v[153:154], v[80:81]
	v_add_f64 v[44:45], v[36:37], -v[44:45]
	v_add_f64 v[46:47], v[38:39], -v[46:47]
	v_fma_f64 v[62:63], v[62:63], v[161:162], -v[82:83]
	v_fma_f64 v[64:65], v[64:65], v[161:162], v[84:85]
	v_fma_f64 v[66:67], v[74:75], v[32:33], -v[86:87]
	v_fma_f64 v[70:71], v[76:77], v[32:33], v[88:89]
	v_add_f64 v[48:49], v[40:41], -v[48:49]
	v_add_f64 v[50:51], v[42:43], -v[50:51]
	v_fma_f64 v[36:37], v[36:37], 2.0, -v[44:45]
	v_fma_f64 v[38:39], v[38:39], 2.0, -v[46:47]
	v_add_f64 v[62:63], v[54:55], -v[62:63]
	v_add_f64 v[64:65], v[56:57], -v[64:65]
	;; [unrolled: 1-line block ×4, first 2 shown]
	v_fma_f64 v[40:41], v[40:41], 2.0, -v[48:49]
	v_fma_f64 v[42:43], v[42:43], 2.0, -v[50:51]
	v_mov_b32_e32 v80, s3
	v_fma_f64 v[54:55], v[54:55], 2.0, -v[62:63]
	v_fma_f64 v[56:57], v[56:57], 2.0, -v[64:65]
	;; [unrolled: 1-line block ×4, first 2 shown]
	ds_write_b128 v168, v[44:47] offset:208
	ds_write_b128 v168, v[36:39]
	ds_write_b128 v167, v[40:43]
	ds_write_b128 v167, v[48:51] offset:208
	ds_write_b128 v166, v[54:57]
	ds_write_b128 v166, v[62:65] offset:208
	ds_write_b128 v165, v[58:61]
	ds_write_b128 v165, v[74:77] offset:208
	s_waitcnt lgkmcnt(0)
	s_barrier
	global_load_dwordx4 v[36:39], v1, s[2:3] offset:208
	v_lshlrev_b32_e32 v1, 4, v95
	global_load_dwordx4 v[40:43], v1, s[2:3] offset:208
	v_lshlrev_b32_e32 v1, 4, v92
	;; [unrolled: 2-line block ×3, first 2 shown]
	global_load_dwordx4 v[48:51], v1, s[2:3] offset:208
	v_add_co_u32_e64 v1, s[0:1], s0, v242
	v_addc_co_u32_e64 v2, s[0:1], 0, -1, s[0:1]
	v_cmp_gt_u16_e64 s[0:1], 52, v242
	v_cndmask_b32_e64 v71, v2, 0, s[0:1]
	v_cndmask_b32_e64 v70, v1, v242, s[0:1]
	v_lshrrev_b16_e32 v1, 12, v53
	v_lshlrev_b64 v[53:54], 4, v[70:71]
	v_mul_lo_u16_e32 v5, 52, v1
	v_sub_u16_e32 v5, v52, v5
	v_mad_legacy_u16 v52, v90, 52, v92
	v_mad_legacy_u16 v55, v91, 52, v93
	v_add_co_u32_e64 v78, s[0:1], s2, v53
	v_addc_co_u32_e64 v79, s[0:1], v80, v54, s[0:1]
	v_lshlrev_b32_e32 v170, 4, v52
	v_lshlrev_b32_e32 v169, 4, v55
	ds_read_b128 v[52:55], v197
	ds_read_b128 v[56:59], v197 offset:1664
	ds_read_b128 v[60:63], v197 offset:6656
	;; [unrolled: 1-line block ×7, first 2 shown]
	v_lshrrev_b32_e32 v2, 20, v68
	v_and_b32_e32 v5, 0xff, v5
	v_mul_lo_u16_e32 v6, 52, v2
	s_waitcnt vmcnt(0) lgkmcnt(0)
	s_barrier
	v_lshlrev_b32_e32 v0, 4, v5
	v_sub_u16_e32 v6, v72, v6
	v_cmp_lt_u16_e64 s[0:1], 51, v242
	v_lshrrev_b32_e32 v68, 21, v68
	v_mad_legacy_u16 v2, v2, s8, v6
	v_lshlrev_b32_e32 v174, 4, v2
	s_movk_i32 s8, 0x1000
	v_mul_f64 v[93:94], v[62:63], v[38:39]
	v_mul_f64 v[95:96], v[60:61], v[38:39]
	;; [unrolled: 1-line block ×8, first 2 shown]
	v_fma_f64 v[60:61], v[60:61], v[36:37], -v[93:94]
	v_fma_f64 v[62:63], v[62:63], v[36:37], v[95:96]
	v_fma_f64 v[64:65], v[64:65], v[40:41], -v[97:98]
	v_fma_f64 v[66:67], v[66:67], v[40:41], v[99:100]
	;; [unrolled: 2-line block ×4, first 2 shown]
	v_add_f64 v[60:61], v[52:53], -v[60:61]
	v_add_f64 v[62:63], v[54:55], -v[62:63]
	;; [unrolled: 1-line block ×8, first 2 shown]
	v_fma_f64 v[52:53], v[52:53], 2.0, -v[60:61]
	v_fma_f64 v[54:55], v[54:55], 2.0, -v[62:63]
	v_fma_f64 v[56:57], v[56:57], 2.0, -v[64:65]
	v_fma_f64 v[58:59], v[58:59], 2.0, -v[66:67]
	v_fma_f64 v[74:75], v[74:75], 2.0, -v[85:86]
	v_fma_f64 v[76:77], v[76:77], 2.0, -v[87:88]
	v_fma_f64 v[81:82], v[81:82], 2.0, -v[89:90]
	v_fma_f64 v[83:84], v[83:84], 2.0, -v[91:92]
	ds_write_b128 v172, v[60:63] offset:416
	ds_write_b128 v172, v[52:55]
	ds_write_b128 v171, v[56:59]
	ds_write_b128 v171, v[64:67] offset:416
	ds_write_b128 v170, v[74:77]
	ds_write_b128 v170, v[85:88] offset:416
	;; [unrolled: 2-line block ×3, first 2 shown]
	s_waitcnt lgkmcnt(0)
	s_barrier
	global_load_dwordx4 v[52:55], v[78:79], off offset:624
	global_load_dwordx4 v[56:59], v0, s[2:3] offset:624
	v_lshlrev_b32_e32 v0, 4, v6
	global_load_dwordx4 v[60:63], v0, s[2:3] offset:624
	v_lshlrev_b32_e32 v0, 4, v7
	global_load_dwordx4 v[64:67], v0, s[2:3] offset:624
	v_mov_b32_e32 v0, 0x68
	v_cndmask_b32_e64 v0, 0, v0, s[0:1]
	v_add_lshl_u32 v176, v70, v0, 4
	v_mul_u32_u24_e32 v0, 0x68, v1
	v_mul_lo_u16_e32 v1, 0x68, v68
	ds_read_b128 v[68:71], v197
	ds_read_b128 v[74:77], v197 offset:1664
	ds_read_b128 v[81:84], v197 offset:6656
	;; [unrolled: 1-line block ×7, first 2 shown]
	v_add_lshl_u32 v175, v0, v5, 4
	s_waitcnt vmcnt(0) lgkmcnt(0)
	s_barrier
	v_sub_u16_e32 v0, v72, v1
	v_lshlrev_b32_e32 v255, 4, v0
	v_sub_u16_e32 v1, v73, v119
	v_lshlrev_b32_e32 v240, 4, v1
	v_add_co_u32_e64 v0, s[0:1], s2, v4
	v_addc_co_u32_e64 v1, s[0:1], 0, v80, s[0:1]
	v_mul_f64 v[78:79], v[83:84], v[54:55]
	v_mul_f64 v[105:106], v[81:82], v[54:55]
	;; [unrolled: 1-line block ×8, first 2 shown]
	v_fma_f64 v[78:79], v[81:82], v[52:53], -v[78:79]
	v_fma_f64 v[83:84], v[83:84], v[52:53], v[105:106]
	v_fma_f64 v[85:86], v[85:86], v[56:57], -v[107:108]
	v_fma_f64 v[87:88], v[87:88], v[56:57], v[109:110]
	;; [unrolled: 2-line block ×4, first 2 shown]
	v_add_f64 v[81:82], v[68:69], -v[78:79]
	v_add_f64 v[83:84], v[70:71], -v[83:84]
	;; [unrolled: 1-line block ×8, first 2 shown]
	v_fma_f64 v[68:69], v[68:69], 2.0, -v[81:82]
	v_fma_f64 v[70:71], v[70:71], 2.0, -v[83:84]
	;; [unrolled: 1-line block ×8, first 2 shown]
	ds_write_b128 v176, v[81:84] offset:832
	ds_write_b128 v176, v[68:71]
	ds_write_b128 v175, v[74:77]
	ds_write_b128 v175, v[85:88] offset:832
	ds_write_b128 v174, v[89:92]
	ds_write_b128 v174, v[97:100] offset:832
	;; [unrolled: 2-line block ×3, first 2 shown]
	s_waitcnt lgkmcnt(0)
	s_barrier
	global_load_dwordx4 v[68:71], v4, s[2:3] offset:1456
	global_load_dwordx4 v[76:79], v240, s[2:3] offset:1456
	;; [unrolled: 1-line block ×3, first 2 shown]
	ds_read_b128 v[80:83], v197
	ds_read_b128 v[84:87], v197 offset:1664
	ds_read_b128 v[88:91], v197 offset:6656
	ds_read_b128 v[92:95], v197 offset:8320
	ds_read_b128 v[96:99], v197 offset:3328
	ds_read_b128 v[100:103], v197 offset:4992
	ds_read_b128 v[104:107], v197 offset:9984
	ds_read_b128 v[108:111], v197 offset:11648
	s_waitcnt vmcnt(0) lgkmcnt(0)
	s_barrier
	v_mul_f64 v[112:113], v[90:91], v[70:71]
	v_mul_f64 v[114:115], v[88:89], v[70:71]
	;; [unrolled: 1-line block ×8, first 2 shown]
	v_fma_f64 v[88:89], v[88:89], v[68:69], -v[112:113]
	v_fma_f64 v[90:91], v[90:91], v[68:69], v[114:115]
	v_fma_f64 v[92:93], v[92:93], v[68:69], -v[116:117]
	v_fma_f64 v[94:95], v[94:95], v[68:69], v[118:119]
	;; [unrolled: 2-line block ×4, first 2 shown]
	v_add_f64 v[88:89], v[80:81], -v[88:89]
	v_add_f64 v[90:91], v[82:83], -v[90:91]
	;; [unrolled: 1-line block ×8, first 2 shown]
	v_fma_f64 v[80:81], v[80:81], 2.0, -v[88:89]
	v_fma_f64 v[82:83], v[82:83], 2.0, -v[90:91]
	;; [unrolled: 1-line block ×8, first 2 shown]
	v_add_co_u32_e64 v120, s[0:1], s8, v0
	ds_write_b128 v197, v[88:91] offset:1664
	ds_write_b128 v197, v[92:95] offset:4992
	ds_write_b128 v197, v[80:83]
	ds_write_b128 v197, v[84:87] offset:3328
	ds_write_b128 v255, v[96:99] offset:6656
	;; [unrolled: 1-line block ×5, first 2 shown]
	s_waitcnt lgkmcnt(0)
	s_barrier
	global_load_dwordx4 v[80:83], v4, s[2:3] offset:3120
	v_addc_co_u32_e64 v121, s[0:1], 0, v1, s[0:1]
	global_load_dwordx4 v[84:87], v[120:121], off offset:688
	ds_read_b128 v[88:91], v197
	ds_read_b128 v[92:95], v197 offset:1664
	ds_read_b128 v[96:99], v197 offset:6656
	;; [unrolled: 1-line block ×7, first 2 shown]
	s_movk_i32 s0, 0x2000
	s_waitcnt vmcnt(0) lgkmcnt(0)
	s_barrier
	v_mul_f64 v[122:123], v[98:99], v[82:83]
	v_mul_f64 v[124:125], v[96:97], v[82:83]
	;; [unrolled: 1-line block ×8, first 2 shown]
	v_fma_f64 v[96:97], v[96:97], v[80:81], -v[122:123]
	v_fma_f64 v[98:99], v[98:99], v[80:81], v[124:125]
	v_fma_f64 v[112:113], v[112:113], v[80:81], -v[130:131]
	v_fma_f64 v[100:101], v[100:101], v[84:85], -v[126:127]
	v_fma_f64 v[102:103], v[102:103], v[84:85], v[128:129]
	v_fma_f64 v[114:115], v[114:115], v[80:81], v[132:133]
	v_fma_f64 v[116:117], v[116:117], v[84:85], -v[134:135]
	v_fma_f64 v[118:119], v[118:119], v[84:85], v[136:137]
	v_add_f64 v[96:97], v[88:89], -v[96:97]
	v_add_f64 v[98:99], v[90:91], -v[98:99]
	;; [unrolled: 1-line block ×8, first 2 shown]
	v_fma_f64 v[88:89], v[88:89], 2.0, -v[96:97]
	v_fma_f64 v[90:91], v[90:91], 2.0, -v[98:99]
	;; [unrolled: 1-line block ×8, first 2 shown]
	ds_write_b128 v197, v[96:99] offset:3328
	ds_write_b128 v197, v[100:103] offset:4992
	;; [unrolled: 1-line block ×4, first 2 shown]
	ds_write_b128 v197, v[88:91]
	ds_write_b128 v197, v[92:95] offset:1664
	ds_write_b128 v197, v[104:107] offset:6656
	;; [unrolled: 1-line block ×3, first 2 shown]
	v_add_co_u32_e64 v104, s[0:1], s0, v0
	v_addc_co_u32_e64 v105, s[0:1], 0, v1, s[0:1]
	s_waitcnt lgkmcnt(0)
	s_barrier
	global_load_dwordx4 v[92:95], v[120:121], off offset:2352
	global_load_dwordx4 v[88:91], v[120:121], off offset:4016
	;; [unrolled: 1-line block ×4, first 2 shown]
	ds_read_b128 v[104:107], v197
	ds_read_b128 v[120:123], v197 offset:1664
	ds_read_b128 v[108:111], v197 offset:6656
	;; [unrolled: 1-line block ×7, first 2 shown]
	s_waitcnt vmcnt(3) lgkmcnt(5)
	v_mul_f64 v[136:137], v[110:111], v[94:95]
	v_mul_f64 v[138:139], v[108:109], v[94:95]
	s_waitcnt vmcnt(2) lgkmcnt(4)
	v_mul_f64 v[140:141], v[114:115], v[90:91]
	v_mul_f64 v[142:143], v[112:113], v[90:91]
	s_waitcnt vmcnt(1) lgkmcnt(1)
	v_mul_f64 v[144:145], v[118:119], v[98:99]
	v_mul_f64 v[146:147], v[116:117], v[98:99]
	s_waitcnt vmcnt(0) lgkmcnt(0)
	v_mul_f64 v[149:150], v[130:131], v[102:103]
	v_mul_f64 v[151:152], v[128:129], v[102:103]
	v_fma_f64 v[108:109], v[108:109], v[92:93], -v[136:137]
	v_fma_f64 v[110:111], v[110:111], v[92:93], v[138:139]
	v_fma_f64 v[112:113], v[112:113], v[88:89], -v[140:141]
	v_fma_f64 v[114:115], v[114:115], v[88:89], v[142:143]
	;; [unrolled: 2-line block ×4, first 2 shown]
	v_add_f64 v[108:109], v[104:105], -v[108:109]
	v_add_f64 v[110:111], v[106:107], -v[110:111]
	;; [unrolled: 1-line block ×8, first 2 shown]
	v_fma_f64 v[104:105], v[104:105], 2.0, -v[108:109]
	v_fma_f64 v[106:107], v[106:107], 2.0, -v[110:111]
	;; [unrolled: 1-line block ×8, first 2 shown]
	ds_write_b128 v197, v[108:111] offset:6656
	ds_write_b128 v197, v[112:115] offset:8320
	;; [unrolled: 1-line block ×4, first 2 shown]
	ds_write_b128 v197, v[104:107]
	ds_write_b128 v197, v[120:123] offset:1664
	ds_write_b128 v197, v[124:127] offset:3328
	;; [unrolled: 1-line block ×3, first 2 shown]
	s_waitcnt lgkmcnt(0)
	s_barrier
	s_and_saveexec_b64 s[0:1], vcc
	s_cbranch_execz .LBB0_9
; %bb.8:
	s_add_u32 s2, s12, 0x3400
	s_addc_u32 s3, s13, 0
	global_load_dwordx4 v[140:143], v241, s[2:3]
	ds_read_b128 v[136:139], v197
	v_or_b32_e32 v0, 0x1000, v241
	s_waitcnt vmcnt(0) lgkmcnt(0)
	v_mul_f64 v[144:145], v[138:139], v[142:143]
	v_fma_f64 v[144:145], v[136:137], v[140:141], -v[144:145]
	v_mul_f64 v[136:137], v[136:137], v[142:143]
	v_fma_f64 v[146:147], v[138:139], v[140:141], v[136:137]
	global_load_dwordx4 v[140:143], v241, s[2:3] offset:1024
	ds_write_b128 v197, v[144:147]
	ds_read_b128 v[136:139], v241 offset:1024
	s_waitcnt vmcnt(0) lgkmcnt(0)
	v_mul_f64 v[144:145], v[138:139], v[142:143]
	v_fma_f64 v[144:145], v[136:137], v[140:141], -v[144:145]
	v_mul_f64 v[136:137], v[136:137], v[142:143]
	v_fma_f64 v[146:147], v[138:139], v[140:141], v[136:137]
	ds_read_b128 v[136:139], v241 offset:2048
	global_load_dwordx4 v[140:143], v241, s[2:3] offset:2048
	ds_write_b128 v241, v[144:147] offset:1024
	s_waitcnt vmcnt(0) lgkmcnt(1)
	v_mul_f64 v[144:145], v[138:139], v[142:143]
	v_fma_f64 v[144:145], v[136:137], v[140:141], -v[144:145]
	v_mul_f64 v[136:137], v[136:137], v[142:143]
	v_fma_f64 v[146:147], v[138:139], v[140:141], v[136:137]
	ds_read_b128 v[136:139], v241 offset:3072
	global_load_dwordx4 v[140:143], v241, s[2:3] offset:3072
	ds_write_b128 v241, v[144:147] offset:2048
	s_waitcnt vmcnt(0) lgkmcnt(1)
	v_mul_f64 v[144:145], v[138:139], v[142:143]
	v_fma_f64 v[144:145], v[136:137], v[140:141], -v[144:145]
	v_mul_f64 v[136:137], v[136:137], v[142:143]
	v_fma_f64 v[146:147], v[138:139], v[140:141], v[136:137]
	global_load_dwordx4 v[140:143], v0, s[2:3]
	ds_read_b128 v[136:139], v241 offset:4096
	v_or_b32_e32 v0, 0x1400, v241
	ds_write_b128 v241, v[144:147] offset:3072
	s_waitcnt vmcnt(0) lgkmcnt(1)
	v_mul_f64 v[144:145], v[138:139], v[142:143]
	v_fma_f64 v[144:145], v[136:137], v[140:141], -v[144:145]
	v_mul_f64 v[136:137], v[136:137], v[142:143]
	v_fma_f64 v[146:147], v[138:139], v[140:141], v[136:137]
	global_load_dwordx4 v[140:143], v0, s[2:3]
	ds_read_b128 v[136:139], v241 offset:5120
	v_or_b32_e32 v0, 0x1800, v241
	;; [unrolled: 9-line block ×8, first 2 shown]
	ds_write_b128 v241, v[144:147] offset:10240
	s_waitcnt vmcnt(0) lgkmcnt(1)
	v_mul_f64 v[144:145], v[138:139], v[142:143]
	v_fma_f64 v[144:145], v[136:137], v[140:141], -v[144:145]
	v_mul_f64 v[136:137], v[136:137], v[142:143]
	v_fma_f64 v[146:147], v[138:139], v[140:141], v[136:137]
	global_load_dwordx4 v[140:143], v0, s[2:3]
	ds_read_b128 v[136:139], v241 offset:12288
	ds_write_b128 v241, v[144:147] offset:11264
	s_waitcnt vmcnt(0) lgkmcnt(1)
	v_mul_f64 v[144:145], v[138:139], v[142:143]
	v_fma_f64 v[144:145], v[136:137], v[140:141], -v[144:145]
	v_mul_f64 v[136:137], v[136:137], v[142:143]
	v_fma_f64 v[146:147], v[138:139], v[140:141], v[136:137]
	ds_write_b128 v241, v[144:147] offset:12288
.LBB0_9:
	s_or_b64 exec, exec, s[0:1]
	s_waitcnt lgkmcnt(0)
	s_barrier
	s_and_saveexec_b64 s[0:1], vcc
	s_cbranch_execz .LBB0_11
; %bb.10:
	ds_read_b128 v[104:107], v197
	ds_read_b128 v[108:111], v197 offset:1024
	ds_read_b128 v[120:123], v197 offset:2048
	;; [unrolled: 1-line block ×11, first 2 shown]
	s_waitcnt lgkmcnt(0)
	buffer_store_dword v0, off, s[48:51], 0 offset:16 ; 4-byte Folded Spill
	s_nop 0
	buffer_store_dword v1, off, s[48:51], 0 offset:20 ; 4-byte Folded Spill
	buffer_store_dword v2, off, s[48:51], 0 offset:24 ; 4-byte Folded Spill
	buffer_store_dword v3, off, s[48:51], 0 offset:28 ; 4-byte Folded Spill
	ds_read_b128 v[0:3], v197 offset:12288
	s_waitcnt lgkmcnt(0)
	buffer_store_dword v0, off, s[48:51], 0 ; 4-byte Folded Spill
	s_nop 0
	buffer_store_dword v1, off, s[48:51], 0 offset:4 ; 4-byte Folded Spill
	buffer_store_dword v2, off, s[48:51], 0 offset:8 ; 4-byte Folded Spill
	;; [unrolled: 1-line block ×3, first 2 shown]
.LBB0_11:
	s_or_b64 exec, exec, s[0:1]
	s_waitcnt vmcnt(0)
	s_barrier
	s_and_saveexec_b64 s[0:1], vcc
	s_cbranch_execz .LBB0_13
; %bb.12:
	buffer_store_dword v153, off, s[48:51], 0 offset:32 ; 4-byte Folded Spill
	s_nop 0
	buffer_store_dword v154, off, s[48:51], 0 offset:36 ; 4-byte Folded Spill
	buffer_store_dword v155, off, s[48:51], 0 offset:40 ; 4-byte Folded Spill
	;; [unrolled: 1-line block ×4, first 2 shown]
	s_nop 0
	buffer_store_dword v158, off, s[48:51], 0 offset:52 ; 4-byte Folded Spill
	buffer_store_dword v159, off, s[48:51], 0 offset:56 ; 4-byte Folded Spill
	;; [unrolled: 1-line block ×3, first 2 shown]
	buffer_load_dword v20, off, s[48:51], 0 ; 4-byte Folded Reload
	buffer_load_dword v21, off, s[48:51], 0 offset:4 ; 4-byte Folded Reload
	buffer_load_dword v22, off, s[48:51], 0 offset:8 ; 4-byte Folded Reload
	;; [unrolled: 1-line block ×7, first 2 shown]
	s_mov_b32 s18, 0x4bc48dbf
	s_mov_b32 s19, 0xbfcea1e5
	buffer_store_dword v161, off, s[48:51], 0 offset:64 ; 4-byte Folded Spill
	s_nop 0
	buffer_store_dword v162, off, s[48:51], 0 offset:68 ; 4-byte Folded Spill
	buffer_store_dword v163, off, s[48:51], 0 offset:72 ; 4-byte Folded Spill
	;; [unrolled: 1-line block ×3, first 2 shown]
	v_mov_b32_e32 v31, v11
	s_mov_b32 s16, 0x93053d00
	v_mov_b32_e32 v29, v9
	v_mov_b32_e32 v28, v8
	s_mov_b32 s21, 0x3fddbe06
	s_mov_b32 s20, 0x4267c47c
	;; [unrolled: 1-line block ×3, first 2 shown]
	buffer_store_dword v167, off, s[48:51], 0 offset:88 ; 4-byte Folded Spill
	buffer_store_dword v168, off, s[48:51], 0 offset:92 ; 4-byte Folded Spill
	v_add_f64 v[167:168], v[112:113], -v[28:29]
	buffer_store_dword v165, off, s[48:51], 0 offset:80 ; 4-byte Folded Spill
	buffer_store_dword v166, off, s[48:51], 0 offset:84 ; 4-byte Folded Spill
	;; [unrolled: 1-line block ×4, first 2 shown]
	s_mov_b32 s26, 0x24c2f84
	s_mov_b32 s22, 0xe00740e9
	v_mov_b32_e32 v30, v10
	s_mov_b32 s27, 0xbfe5384d
	s_mov_b32 s23, 0x3fec55a7
	v_add_f64 v[157:158], v[124:125], -v[16:17]
	v_mul_f64 v[179:180], v[167:168], s[26:27]
	v_add_f64 v[161:162], v[114:115], v[30:31]
	buffer_store_dword v169, off, s[48:51], 0 offset:96 ; 4-byte Folded Spill
	buffer_store_dword v170, off, s[48:51], 0 offset:100 ; 4-byte Folded Spill
	v_mov_b32_e32 v10, v173
	v_mov_b32_e32 v9, v174
	buffer_store_dword v171, off, s[48:51], 0 offset:104 ; 4-byte Folded Spill
	v_mov_b32_e32 v11, v172
	s_mov_b32 s38, 0x42a4c3d2
	s_mov_b32 s24, 0xd0032e0c
	;; [unrolled: 1-line block ×4, first 2 shown]
	v_mul_f64 v[142:143], v[157:158], s[38:39]
	v_fma_f64 v[181:182], v[161:162], s[24:25], v[179:180]
	s_mov_b32 s28, 0x1ea71119
	s_mov_b32 s29, 0x3fe22d96
	v_add_f64 v[155:156], v[116:117], -v[12:13]
	v_add_f64 v[187:188], v[126:127], -v[18:19]
	s_mov_b32 s10, 0x2ef20147
	s_mov_b32 s11, 0xbfedeba7
	v_add_f64 v[153:154], v[132:133], -v[128:129]
	v_add_f64 v[151:152], v[118:119], v[14:15]
	s_mov_b32 s30, 0x66966769
	s_mov_b32 s8, 0xb2365da1
	v_mul_f64 v[136:137], v[155:156], s[10:11]
	v_mul_f64 v[222:223], v[187:188], s[38:39]
	s_mov_b32 s31, 0x3fefc445
	s_mov_b32 s9, 0xbfd6b1d8
	v_add_f64 v[149:150], v[134:135], v[130:131]
	v_mul_f64 v[138:139], v[153:154], s[30:31]
	s_mov_b32 s2, 0xebaa3ed8
	s_mov_b32 s3, 0x3fbedb7d
	v_fma_f64 v[140:141], v[151:152], s[8:9], v[136:137]
	v_fma_f64 v[136:137], v[151:152], s[8:9], -v[136:137]
	s_mov_b32 s35, 0xbfea55e2
	s_mov_b32 s34, s38
	;; [unrolled: 1-line block ×4, first 2 shown]
	v_mul_f64 v[238:239], v[187:188], s[42:43]
	s_mov_b32 s41, 0x3fe5384d
	s_mov_b32 s40, s26
	;; [unrolled: 1-line block ×4, first 2 shown]
	v_mul_f64 v[249:250], v[157:158], s[36:37]
	v_mov_b32_e32 v8, v252
	v_mul_f64 v[208:209], v[153:154], s[26:27]
	s_waitcnt vmcnt(19)
	v_add_f64 v[195:196], v[108:109], -v[20:21]
	s_waitcnt vmcnt(15)
	v_add_f64 v[193:194], v[120:121], -v[24:25]
	v_add_f64 v[163:164], v[110:111], v[22:23]
	s_waitcnt vmcnt(13)
	v_add_f64 v[159:160], v[122:123], v[26:27]
	v_add_f64 v[175:176], v[110:111], -v[22:23]
	v_add_f64 v[173:174], v[122:123], -v[26:27]
	v_add_f64 v[171:172], v[108:109], v[20:21]
	v_add_f64 v[110:111], v[106:107], v[110:111]
	v_mul_f64 v[144:145], v[195:196], s[18:19]
	v_mul_f64 v[146:147], v[193:194], s[20:21]
	v_add_f64 v[108:109], v[104:105], v[108:109]
	v_mul_f64 v[185:186], v[175:176], s[18:19]
	v_mul_f64 v[212:213], v[173:174], s[20:21]
	v_add_f64 v[110:111], v[110:111], v[122:123]
	v_fma_f64 v[165:166], v[163:164], s[16:17], v[144:145]
	v_fma_f64 v[169:170], v[159:160], s[22:23], v[146:147]
	v_fma_f64 v[144:145], v[163:164], s[16:17], -v[144:145]
	v_fma_f64 v[146:147], v[159:160], s[22:23], -v[146:147]
	;; [unrolled: 1-line block ×3, first 2 shown]
	v_fma_f64 v[228:229], v[171:172], s[16:17], v[185:186]
	v_add_f64 v[185:186], v[132:133], v[128:129]
	v_add_f64 v[108:109], v[108:109], v[120:121]
	;; [unrolled: 1-line block ×7, first 2 shown]
	v_add_f64 v[189:190], v[118:119], -v[14:15]
	v_add_f64 v[228:229], v[104:105], v[228:229]
	v_mul_f64 v[122:123], v[157:158], s[10:11]
	v_add_f64 v[183:184], v[169:170], v[177:178]
	v_add_f64 v[177:178], v[114:115], -v[30:31]
	v_add_f64 v[169:170], v[120:121], v[24:25]
	v_fma_f64 v[191:192], v[165:166], s[28:29], v[142:143]
	v_add_f64 v[144:145], v[146:147], v[144:145]
	v_mul_f64 v[146:147], v[189:190], s[10:11]
	v_fma_f64 v[142:143], v[165:166], s[28:29], -v[142:143]
	v_fma_f64 v[253:254], v[165:166], s[2:3], v[249:250]
	v_add_f64 v[181:182], v[181:182], v[183:184]
	v_add_f64 v[183:184], v[112:113], v[28:29]
	v_mul_f64 v[214:215], v[177:178], s[26:27]
	v_fma_f64 v[216:217], v[169:170], s[22:23], -v[212:213]
	v_fma_f64 v[212:213], v[169:170], s[22:23], v[212:213]
	v_mul_f64 v[232:233], v[177:178], s[34:35]
	v_mul_f64 v[245:246], v[177:178], s[20:21]
	v_fma_f64 v[249:250], v[165:166], s[2:3], -v[249:250]
	v_add_f64 v[220:221], v[191:192], v[181:182]
	v_add_f64 v[181:182], v[124:125], v[16:17]
	v_fma_f64 v[224:225], v[183:184], s[24:25], -v[214:215]
	v_add_f64 v[216:217], v[216:217], v[218:219]
	v_fma_f64 v[218:219], v[161:162], s[24:25], -v[179:180]
	v_add_f64 v[191:192], v[134:135], -v[130:131]
	v_add_f64 v[179:180], v[116:117], v[12:13]
	v_fma_f64 v[214:215], v[183:184], s[24:25], v[214:215]
	v_add_f64 v[140:141], v[140:141], v[220:221]
	v_fma_f64 v[226:227], v[181:182], s[28:29], -v[222:223]
	v_add_f64 v[212:213], v[212:213], v[228:229]
	v_add_f64 v[216:217], v[224:225], v[216:217]
	;; [unrolled: 1-line block ×3, first 2 shown]
	v_mul_f64 v[218:219], v[191:192], s[30:31]
	v_fma_f64 v[224:225], v[179:180], s[8:9], -v[146:147]
	v_fma_f64 v[222:223], v[181:182], s[28:29], v[222:223]
	v_mul_f64 v[228:229], v[157:158], s[42:43]
	v_fma_f64 v[146:147], v[179:180], s[8:9], v[146:147]
	v_add_f64 v[212:213], v[214:215], v[212:213]
	v_add_f64 v[216:217], v[226:227], v[216:217]
	;; [unrolled: 1-line block ×3, first 2 shown]
	v_fma_f64 v[144:145], v[149:150], s[2:3], v[138:139]
	v_mul_f64 v[226:227], v[195:196], s[26:27]
	v_fma_f64 v[220:221], v[185:186], s[2:3], -v[218:219]
	v_fma_f64 v[236:237], v[165:166], s[16:17], v[228:229]
	v_fma_f64 v[228:229], v[165:166], s[16:17], -v[228:229]
	v_add_f64 v[212:213], v[222:223], v[212:213]
	v_add_f64 v[216:217], v[224:225], v[216:217]
	v_fma_f64 v[224:225], v[149:150], s[2:3], -v[138:139]
	v_add_f64 v[138:139], v[144:145], v[140:141]
	v_mul_f64 v[144:145], v[193:194], s[30:31]
	v_fma_f64 v[214:215], v[163:164], s[24:25], v[226:227]
	v_fma_f64 v[226:227], v[163:164], s[24:25], -v[226:227]
	v_add_f64 v[142:143], v[136:137], v[142:143]
	v_fma_f64 v[140:141], v[185:186], s[2:3], v[218:219]
	v_add_f64 v[136:137], v[220:221], v[216:217]
	v_mul_f64 v[216:217], v[175:176], s[26:27]
	v_mul_f64 v[218:219], v[167:168], s[34:35]
	v_fma_f64 v[220:221], v[159:160], s[2:3], v[144:145]
	v_add_f64 v[214:215], v[106:107], v[214:215]
	v_fma_f64 v[144:145], v[159:160], s[2:3], -v[144:145]
	v_add_f64 v[226:227], v[106:107], v[226:227]
	v_add_f64 v[142:143], v[224:225], v[142:143]
	v_mul_f64 v[222:223], v[173:174], s[30:31]
	v_fma_f64 v[224:225], v[171:172], s[24:25], -v[216:217]
	v_fma_f64 v[230:231], v[161:162], s[28:29], v[218:219]
	v_fma_f64 v[218:219], v[161:162], s[28:29], -v[218:219]
	v_add_f64 v[214:215], v[220:221], v[214:215]
	v_mul_f64 v[220:221], v[155:156], s[20:21]
	v_add_f64 v[144:145], v[144:145], v[226:227]
	v_fma_f64 v[216:217], v[171:172], s[24:25], v[216:217]
	v_fma_f64 v[234:235], v[169:170], s[2:3], -v[222:223]
	v_add_f64 v[224:225], v[104:105], v[224:225]
	v_fma_f64 v[243:244], v[183:184], s[28:29], -v[232:233]
	v_fma_f64 v[222:223], v[169:170], s[2:3], v[222:223]
	v_add_f64 v[214:215], v[230:231], v[214:215]
	v_mul_f64 v[230:231], v[153:154], s[10:11]
	v_add_f64 v[144:145], v[218:219], v[144:145]
	v_add_f64 v[216:217], v[104:105], v[216:217]
	;; [unrolled: 1-line block ×4, first 2 shown]
	v_fma_f64 v[234:235], v[151:152], s[22:23], v[220:221]
	v_fma_f64 v[220:221], v[151:152], s[22:23], -v[220:221]
	v_add_f64 v[214:215], v[236:237], v[214:215]
	v_mul_f64 v[212:213], v[189:190], s[20:21]
	v_add_f64 v[144:145], v[228:229], v[144:145]
	v_fma_f64 v[226:227], v[181:182], s[16:17], -v[238:239]
	v_fma_f64 v[236:237], v[149:150], s[8:9], v[230:231]
	v_add_f64 v[224:225], v[243:244], v[224:225]
	v_mul_f64 v[228:229], v[195:196], s[10:11]
	v_add_f64 v[216:217], v[222:223], v[216:217]
	v_add_f64 v[214:215], v[234:235], v[214:215]
	v_mul_f64 v[222:223], v[175:176], s[10:11]
	v_add_f64 v[220:221], v[220:221], v[144:145]
	v_fma_f64 v[144:145], v[183:184], s[28:29], v[232:233]
	v_fma_f64 v[234:235], v[179:180], s[22:23], -v[212:213]
	v_add_f64 v[224:225], v[226:227], v[224:225]
	v_add_f64 v[140:141], v[140:141], v[146:147]
	v_fma_f64 v[226:227], v[149:150], s[8:9], -v[230:231]
	v_add_f64 v[146:147], v[236:237], v[214:215]
	v_mul_f64 v[230:231], v[193:194], s[40:41]
	v_fma_f64 v[232:233], v[163:164], s[8:9], v[228:229]
	v_add_f64 v[144:145], v[144:145], v[216:217]
	v_mul_f64 v[236:237], v[173:174], s[40:41]
	v_fma_f64 v[216:217], v[171:172], s[8:9], -v[222:223]
	v_add_f64 v[224:225], v[234:235], v[224:225]
	v_fma_f64 v[234:235], v[181:182], s[16:17], v[238:239]
	v_mul_f64 v[238:239], v[167:168], s[20:21]
	v_fma_f64 v[243:244], v[159:160], s[24:25], v[230:231]
	v_add_f64 v[232:233], v[106:107], v[232:233]
	v_fma_f64 v[228:229], v[163:164], s[8:9], -v[228:229]
	v_fma_f64 v[247:248], v[169:170], s[24:25], -v[236:237]
	v_add_f64 v[216:217], v[104:105], v[216:217]
	v_mul_f64 v[218:219], v[191:192], s[10:11]
	v_add_f64 v[144:145], v[234:235], v[144:145]
	v_fma_f64 v[251:252], v[161:162], s[22:23], v[238:239]
	v_mul_f64 v[234:235], v[187:188], s[36:37]
	v_add_f64 v[232:233], v[243:244], v[232:233]
	v_fma_f64 v[243:244], v[183:184], s[22:23], -v[245:246]
	v_fma_f64 v[230:231], v[159:160], s[24:25], -v[230:231]
	v_add_f64 v[216:217], v[247:248], v[216:217]
	v_mul_f64 v[247:248], v[155:156], s[42:43]
	v_add_f64 v[228:229], v[106:107], v[228:229]
	v_fma_f64 v[214:215], v[185:186], s[8:9], -v[218:219]
	v_fma_f64 v[198:199], v[181:182], s[2:3], -v[234:235]
	v_add_f64 v[232:233], v[251:252], v[232:233]
	v_mul_f64 v[251:252], v[189:190], s[42:43]
	v_fma_f64 v[212:213], v[179:180], s[22:23], v[212:213]
	v_add_f64 v[216:217], v[243:244], v[216:217]
	v_mul_f64 v[243:244], v[153:154], s[38:39]
	v_fma_f64 v[200:201], v[151:152], s[16:17], v[247:248]
	v_fma_f64 v[238:239], v[161:162], s[22:23], -v[238:239]
	v_add_f64 v[228:229], v[230:231], v[228:229]
	v_add_f64 v[232:233], v[253:254], v[232:233]
	v_mul_f64 v[230:231], v[191:192], s[38:39]
	v_fma_f64 v[253:254], v[179:180], s[16:17], -v[251:252]
	v_add_f64 v[198:199], v[198:199], v[216:217]
	v_fma_f64 v[216:217], v[185:186], s[8:9], v[218:219]
	v_add_f64 v[212:213], v[212:213], v[144:145]
	v_fma_f64 v[218:219], v[149:150], s[28:29], v[243:244]
	v_add_f64 v[228:229], v[238:239], v[228:229]
	v_add_f64 v[200:201], v[200:201], v[232:233]
	v_fma_f64 v[232:233], v[185:186], s[28:29], -v[230:231]
	v_add_f64 v[144:145], v[214:215], v[224:225]
	v_add_f64 v[198:199], v[253:254], v[198:199]
	;; [unrolled: 1-line block ×3, first 2 shown]
	v_fma_f64 v[220:221], v[171:172], s[8:9], v[222:223]
	v_fma_f64 v[222:223], v[151:152], s[16:17], -v[247:248]
	v_add_f64 v[224:225], v[249:250], v[228:229]
	v_add_f64 v[212:213], v[216:217], v[212:213]
	;; [unrolled: 1-line block ×3, first 2 shown]
	v_mul_f64 v[200:201], v[195:196], s[36:37]
	v_add_f64 v[216:217], v[232:233], v[198:199]
	v_fma_f64 v[198:199], v[169:170], s[24:25], v[236:237]
	v_add_f64 v[220:221], v[104:105], v[220:221]
	v_mul_f64 v[228:229], v[175:176], s[36:37]
	v_add_f64 v[222:223], v[222:223], v[224:225]
	v_fma_f64 v[224:225], v[181:182], s[2:3], v[234:235]
	v_fma_f64 v[232:233], v[183:184], s[22:23], v[245:246]
	v_mul_f64 v[234:235], v[193:194], s[18:19]
	v_fma_f64 v[236:237], v[163:164], s[2:3], v[200:201]
	v_mul_f64 v[238:239], v[173:174], s[18:19]
	v_add_f64 v[198:199], v[198:199], v[220:221]
	v_fma_f64 v[220:221], v[171:172], s[2:3], -v[228:229]
	s_mov_b32 s39, 0x3fedeba7
	s_mov_b32 s38, s10
	v_fma_f64 v[226:227], v[149:150], s[28:29], -v[243:244]
	v_mul_f64 v[243:244], v[167:168], s[38:39]
	v_fma_f64 v[245:246], v[159:160], s[16:17], v[234:235]
	v_add_f64 v[236:237], v[106:107], v[236:237]
	v_add_f64 v[198:199], v[232:233], v[198:199]
	v_mul_f64 v[247:248], v[177:178], s[38:39]
	v_fma_f64 v[249:250], v[169:170], s[16:17], -v[238:239]
	v_add_f64 v[220:221], v[104:105], v[220:221]
	v_fma_f64 v[200:201], v[163:164], s[2:3], -v[200:201]
	v_fma_f64 v[232:233], v[179:180], s[16:17], v[251:252]
	v_mul_f64 v[251:252], v[157:158], s[20:21]
	v_fma_f64 v[253:254], v[161:162], s[8:9], v[243:244]
	v_add_f64 v[236:237], v[245:246], v[236:237]
	v_add_f64 v[198:199], v[224:225], v[198:199]
	v_mul_f64 v[245:246], v[187:188], s[20:21]
	v_fma_f64 v[224:225], v[183:184], s[8:9], -v[247:248]
	v_add_f64 v[220:221], v[249:250], v[220:221]
	v_fma_f64 v[234:235], v[159:160], s[16:17], -v[234:235]
	v_add_f64 v[200:201], v[106:107], v[200:201]
	v_mul_f64 v[249:250], v[155:156], s[34:35]
	v_fma_f64 v[204:205], v[165:166], s[22:23], v[251:252]
	v_add_f64 v[236:237], v[253:254], v[236:237]
	v_mul_f64 v[253:254], v[189:190], s[34:35]
	v_fma_f64 v[206:207], v[181:182], s[22:23], -v[245:246]
	v_add_f64 v[220:221], v[224:225], v[220:221]
	v_fma_f64 v[243:244], v[161:162], s[8:9], -v[243:244]
	v_add_f64 v[200:201], v[234:235], v[200:201]
	v_fma_f64 v[224:225], v[151:152], s[28:29], v[249:250]
	v_add_f64 v[198:199], v[232:233], v[198:199]
	v_add_f64 v[204:205], v[204:205], v[236:237]
	v_mul_f64 v[236:237], v[191:192], s[26:27]
	v_fma_f64 v[210:211], v[179:180], s[28:29], -v[253:254]
	v_add_f64 v[206:207], v[206:207], v[220:221]
	v_fma_f64 v[220:221], v[185:186], s[28:29], v[230:231]
	v_fma_f64 v[232:233], v[165:166], s[22:23], -v[251:252]
	v_add_f64 v[200:201], v[243:244], v[200:201]
	v_fma_f64 v[230:231], v[149:150], s[24:25], v[208:209]
	v_add_f64 v[204:205], v[224:225], v[204:205]
	v_fma_f64 v[224:225], v[185:186], s[24:25], -v[236:237]
	v_add_f64 v[222:223], v[226:227], v[222:223]
	v_add_f64 v[206:207], v[210:211], v[206:207]
	;; [unrolled: 1-line block ×3, first 2 shown]
	v_fma_f64 v[198:199], v[171:172], s[2:3], v[228:229]
	v_mul_f64 v[210:211], v[195:196], s[34:35]
	v_add_f64 v[200:201], v[232:233], v[200:201]
	v_mul_f64 v[232:233], v[175:176], s[34:35]
	v_add_f64 v[226:227], v[230:231], v[204:205]
	v_fma_f64 v[204:205], v[151:152], s[28:29], -v[249:250]
	v_add_f64 v[224:225], v[224:225], v[206:207]
	v_fma_f64 v[206:207], v[169:170], s[16:17], v[238:239]
	v_add_f64 v[198:199], v[104:105], v[198:199]
	v_mul_f64 v[234:235], v[193:194], s[10:11]
	v_fma_f64 v[228:229], v[163:164], s[28:29], v[210:211]
	v_mul_f64 v[238:239], v[173:174], s[10:11]
	v_fma_f64 v[230:231], v[171:172], s[28:29], -v[232:233]
	v_add_f64 v[200:201], v[204:205], v[200:201]
	v_fma_f64 v[204:205], v[183:184], s[8:9], v[247:248]
	v_mul_f64 v[247:248], v[177:178], s[18:19]
	v_add_f64 v[198:199], v[206:207], v[198:199]
	v_mul_f64 v[206:207], v[167:168], s[18:19]
	v_fma_f64 v[243:244], v[159:160], s[8:9], v[234:235]
	v_add_f64 v[228:229], v[106:107], v[228:229]
	v_fma_f64 v[249:250], v[169:170], s[8:9], -v[238:239]
	v_add_f64 v[230:231], v[104:105], v[230:231]
	v_fma_f64 v[210:211], v[163:164], s[28:29], -v[210:211]
	v_fma_f64 v[202:203], v[183:184], s[16:17], -v[247:248]
	v_mul_f64 v[4:5], v[191:192], s[20:21]
	v_fma_f64 v[251:252], v[161:162], s[16:17], v[206:207]
	v_add_f64 v[198:199], v[204:205], v[198:199]
	v_add_f64 v[228:229], v[243:244], v[228:229]
	v_fma_f64 v[243:244], v[179:180], s[28:29], v[253:254]
	v_mul_f64 v[253:254], v[187:188], s[40:41]
	v_add_f64 v[230:231], v[249:250], v[230:231]
	v_add_f64 v[210:211], v[106:107], v[210:211]
	v_mul_f64 v[204:205], v[157:158], s[40:41]
	v_fma_f64 v[206:207], v[161:162], s[16:17], -v[206:207]
	v_mul_f64 v[193:194], v[193:194], s[34:35]
	v_add_f64 v[228:229], v[251:252], v[228:229]
	v_mul_f64 v[251:252], v[189:190], s[30:31]
	v_fma_f64 v[0:1], v[181:182], s[24:25], -v[253:254]
	v_add_f64 v[2:3], v[202:203], v[230:231]
	v_mul_f64 v[202:203], v[153:154], s[20:21]
	s_mov_b32 s21, 0xbfddbe06
	v_mul_f64 v[195:196], v[195:196], s[20:21]
	v_fma_f64 v[249:250], v[165:166], s[24:25], v[204:205]
	v_fma_f64 v[204:205], v[165:166], s[24:25], -v[204:205]
	v_fma_f64 v[6:7], v[179:180], s[2:3], -v[251:252]
	v_mul_f64 v[167:168], v[167:168], s[36:37]
	v_add_f64 v[0:1], v[0:1], v[2:3]
	v_fma_f64 v[2:3], v[159:160], s[8:9], -v[234:235]
	v_fma_f64 v[245:246], v[181:182], s[22:23], v[245:246]
	v_fma_f64 v[234:235], v[163:164], s[22:23], v[195:196]
	;; [unrolled: 1-line block ×3, first 2 shown]
	v_add_f64 v[108:109], v[108:109], v[112:113]
	v_add_f64 v[110:111], v[110:111], v[126:127]
	v_fma_f64 v[157:158], v[161:162], s[2:3], v[167:168]
	v_add_f64 v[0:1], v[6:7], v[0:1]
	v_fma_f64 v[6:7], v[171:172], s[28:29], v[232:233]
	;; [unrolled: 2-line block ×3, first 2 shown]
	v_add_f64 v[234:235], v[106:107], v[234:235]
	v_add_f64 v[198:199], v[245:246], v[198:199]
	v_mul_f64 v[245:246], v[155:156], s[30:31]
	v_fma_f64 v[112:113], v[179:180], s[2:3], v[251:252]
	v_mul_f64 v[114:115], v[155:156], s[26:27]
	v_add_f64 v[6:7], v[104:105], v[6:7]
	v_add_f64 v[2:3], v[206:207], v[2:3]
	v_fma_f64 v[206:207], v[183:184], s[16:17], v[247:248]
	v_add_f64 v[124:125], v[108:109], v[124:125]
	v_add_f64 v[110:111], v[110:111], v[118:119]
	v_fma_f64 v[236:237], v[185:186], s[24:25], v[236:237]
	v_add_f64 v[198:199], v[243:244], v[198:199]
	v_fma_f64 v[232:233], v[151:152], s[2:3], -v[245:246]
	v_add_f64 v[6:7], v[210:211], v[6:7]
	v_fma_f64 v[210:211], v[159:160], s[28:29], v[193:194]
	v_add_f64 v[2:3], v[204:205], v[2:3]
	v_add_f64 v[116:117], v[124:125], v[116:117]
	v_mul_f64 v[118:119], v[175:176], s[20:21]
	v_add_f64 v[110:111], v[110:111], v[134:135]
	v_add_f64 v[249:250], v[249:250], v[228:229]
	;; [unrolled: 1-line block ×5, first 2 shown]
	v_fma_f64 v[198:199], v[149:150], s[22:23], v[202:203]
	v_fma_f64 v[202:203], v[149:150], s[22:23], -v[202:203]
	v_add_f64 v[2:3], v[232:233], v[2:3]
	v_add_f64 v[116:117], v[116:117], v[132:133]
	v_fma_f64 v[132:133], v[171:172], s[22:23], v[118:119]
	v_fma_f64 v[118:119], v[171:172], s[22:23], -v[118:119]
	v_add_f64 v[6:7], v[120:121], v[6:7]
	v_fma_f64 v[120:121], v[165:166], s[8:9], v[122:123]
	v_add_f64 v[155:156], v[157:158], v[204:205]
	v_mul_f64 v[157:158], v[173:174], s[34:35]
	v_fma_f64 v[159:160], v[159:160], s[28:29], -v[193:194]
	v_add_f64 v[110:111], v[110:111], v[130:131]
	v_add_f64 v[108:109], v[202:203], v[2:3]
	v_mul_f64 v[2:3], v[153:154], s[18:19]
	v_add_f64 v[112:113], v[112:113], v[6:7]
	v_mul_f64 v[153:154], v[187:188], s[10:11]
	v_add_f64 v[6:7], v[120:121], v[155:156]
	v_fma_f64 v[155:156], v[163:164], s[22:23], -v[195:196]
	v_add_f64 v[116:117], v[116:117], v[128:129]
	v_add_f64 v[128:129], v[104:105], v[132:133]
	;; [unrolled: 1-line block ×3, first 2 shown]
	v_fma_f64 v[118:119], v[161:162], s[2:3], -v[167:168]
	v_add_f64 v[14:15], v[110:111], v[14:15]
	buffer_load_dword v176, off, s[48:51], 0 offset:112 ; 4-byte Folded Reload
	buffer_load_dword v175, off, s[48:51], 0 offset:108 ; 4-byte Folded Reload
	;; [unrolled: 1-line block ×3, first 2 shown]
	v_add_f64 v[106:107], v[106:107], v[155:156]
	v_fma_f64 v[155:156], v[169:170], s[28:29], v[157:158]
	v_fma_f64 v[130:131], v[169:170], s[28:29], -v[157:158]
	buffer_load_dword v170, off, s[48:51], 0 offset:100 ; 4-byte Folded Reload
	buffer_load_dword v169, off, s[48:51], 0 offset:96 ; 4-byte Folded Reload
	;; [unrolled: 1-line block ×8, first 2 shown]
	v_fma_f64 v[122:123], v[165:166], s[8:9], -v[122:123]
	v_add_f64 v[14:15], v[14:15], v[18:19]
	v_fma_f64 v[18:19], v[181:182], s[8:9], -v[153:154]
	v_add_f64 v[106:107], v[159:160], v[106:107]
	buffer_load_dword v157, off, s[48:51], 0 offset:48 ; 4-byte Folded Reload
	buffer_load_dword v158, off, s[48:51], 0 offset:52 ; 4-byte Folded Reload
	;; [unrolled: 1-line block ×4, first 2 shown]
	v_add_f64 v[110:111], v[155:156], v[128:129]
	buffer_load_dword v166, off, s[48:51], 0 offset:84 ; 4-byte Folded Reload
	buffer_load_dword v165, off, s[48:51], 0 offset:80 ; 4-byte Folded Reload
	v_mul_f64 v[134:135], v[177:178], s[36:37]
	v_add_f64 v[12:13], v[116:117], v[12:13]
	v_add_f64 v[104:105], v[130:131], v[104:105]
	v_fma_f64 v[208:209], v[149:150], s[24:25], -v[208:209]
	v_add_f64 v[106:107], v[118:119], v[106:107]
	v_fma_f64 v[118:119], v[181:182], s[8:9], v[153:154]
	buffer_load_dword v153, off, s[48:51], 0 offset:32 ; 4-byte Folded Reload
	buffer_load_dword v154, off, s[48:51], 0 offset:36 ; 4-byte Folded Reload
	;; [unrolled: 1-line block ×4, first 2 shown]
	v_mul_f64 v[124:125], v[189:190], s[26:27]
	v_fma_f64 v[132:133], v[183:184], s[2:3], v[134:135]
	v_fma_f64 v[116:117], v[183:184], s[2:3], -v[134:135]
	v_add_f64 v[12:13], v[12:13], v[16:17]
	v_mov_b32_e32 v252, v8
	v_mov_b32_e32 v174, v9
	;; [unrolled: 1-line block ×4, first 2 shown]
	v_add_f64 v[106:107], v[122:123], v[106:107]
	v_add_f64 v[16:17], v[132:133], v[110:111]
	;; [unrolled: 1-line block ×3, first 2 shown]
	v_fma_f64 v[110:111], v[151:152], s[24:25], -v[114:115]
	v_add_f64 v[10:11], v[14:15], v[30:31]
	v_add_f64 v[8:9], v[12:13], v[28:29]
	;; [unrolled: 1-line block ×3, first 2 shown]
	v_fma_f64 v[208:209], v[185:186], s[22:23], -v[4:5]
	v_fma_f64 v[126:127], v[185:186], s[22:23], v[4:5]
	v_fma_f64 v[4:5], v[151:152], s[24:25], v[114:115]
	v_mul_f64 v[120:121], v[191:192], s[18:19]
	v_fma_f64 v[114:115], v[179:180], s[24:25], v[124:125]
	v_add_f64 v[12:13], v[118:119], v[16:17]
	v_fma_f64 v[243:244], v[151:152], s[2:3], v[245:246]
	v_fma_f64 v[14:15], v[179:180], s[24:25], -v[124:125]
	v_add_f64 v[16:17], v[18:19], v[104:105]
	v_add_f64 v[104:105], v[110:111], v[106:107]
	v_add_f64 v[10:11], v[10:11], v[26:27]
	v_add_f64 v[110:111], v[8:9], v[24:25]
	v_fma_f64 v[18:19], v[149:150], s[16:17], -v[2:3]
	v_fma_f64 v[106:107], v[185:186], s[16:17], v[120:121]
	v_add_f64 v[12:13], v[114:115], v[12:13]
	v_add_f64 v[200:201], v[243:244], v[249:250]
	v_fma_f64 v[114:115], v[149:150], s[16:17], v[2:3]
	v_add_f64 v[116:117], v[4:5], v[6:7]
	v_fma_f64 v[118:119], v[185:186], s[16:17], -v[120:121]
	v_add_f64 v[14:15], v[14:15], v[16:17]
	v_add_f64 v[8:9], v[10:11], v[22:23]
	;; [unrolled: 1-line block ×7, first 2 shown]
	v_lshlrev_b32_e32 v0, 4, v148
	v_add_f64 v[12:13], v[198:199], v[200:201]
	v_add_f64 v[16:17], v[114:115], v[116:117]
	;; [unrolled: 1-line block ×3, first 2 shown]
	ds_write_b128 v0, v[6:9]
	ds_write_b128 v0, v[2:5] offset:16
	ds_write_b128 v0, v[106:109] offset:32
	;; [unrolled: 1-line block ×12, first 2 shown]
.LBB0_13:
	s_or_b64 exec, exec, s[0:1]
	s_waitcnt vmcnt(0) lgkmcnt(0)
	s_barrier
	ds_read_b128 v[0:3], v197
	ds_read_b128 v[4:7], v197 offset:1664
	ds_read_b128 v[8:11], v197 offset:6656
	ds_read_b128 v[12:15], v197 offset:8320
	ds_read_b128 v[16:19], v197 offset:3328
	ds_read_b128 v[104:107], v197 offset:4992
	ds_read_b128 v[108:111], v197 offset:9984
	ds_read_b128 v[112:115], v197 offset:11648
	s_waitcnt lgkmcnt(5)
	v_mul_f64 v[116:117], v[159:160], v[10:11]
	v_mul_f64 v[26:27], v[159:160], v[8:9]
	s_waitcnt lgkmcnt(4)
	v_mul_f64 v[118:119], v[155:156], v[14:15]
	v_mul_f64 v[22:23], v[155:156], v[12:13]
	s_waitcnt lgkmcnt(1)
	v_mul_f64 v[120:121], v[163:164], v[110:111]
	v_mul_f64 v[30:31], v[163:164], v[108:109]
	s_waitcnt lgkmcnt(0)
	v_mul_f64 v[122:123], v[34:35], v[114:115]
	v_mul_f64 v[34:35], v[34:35], v[112:113]
	v_fma_f64 v[8:9], v[157:158], v[8:9], v[116:117]
	v_fma_f64 v[10:11], v[157:158], v[10:11], -v[26:27]
	v_fma_f64 v[12:13], v[153:154], v[12:13], v[118:119]
	v_fma_f64 v[14:15], v[153:154], v[14:15], -v[22:23]
	v_fma_f64 v[20:21], v[161:162], v[108:109], v[120:121]
	v_fma_f64 v[22:23], v[161:162], v[110:111], -v[30:31]
	v_fma_f64 v[24:25], v[32:33], v[112:113], v[122:123]
	v_fma_f64 v[26:27], v[32:33], v[114:115], -v[34:35]
	v_add_f64 v[8:9], v[0:1], -v[8:9]
	v_add_f64 v[10:11], v[2:3], -v[10:11]
	v_add_f64 v[12:13], v[4:5], -v[12:13]
	v_add_f64 v[14:15], v[6:7], -v[14:15]
	v_add_f64 v[20:21], v[16:17], -v[20:21]
	v_add_f64 v[22:23], v[18:19], -v[22:23]
	v_add_f64 v[24:25], v[104:105], -v[24:25]
	v_add_f64 v[26:27], v[106:107], -v[26:27]
	v_fma_f64 v[0:1], v[0:1], 2.0, -v[8:9]
	v_fma_f64 v[2:3], v[2:3], 2.0, -v[10:11]
	v_fma_f64 v[4:5], v[4:5], 2.0, -v[12:13]
	v_fma_f64 v[6:7], v[6:7], 2.0, -v[14:15]
	v_fma_f64 v[16:17], v[16:17], 2.0, -v[20:21]
	v_fma_f64 v[18:19], v[18:19], 2.0, -v[22:23]
	v_fma_f64 v[28:29], v[104:105], 2.0, -v[24:25]
	v_fma_f64 v[30:31], v[106:107], 2.0, -v[26:27]
	s_barrier
	ds_write_b128 v168, v[0:3]
	ds_write_b128 v168, v[8:11] offset:208
	ds_write_b128 v167, v[4:7]
	ds_write_b128 v167, v[12:15] offset:208
	ds_write_b128 v166, v[16:19]
	ds_write_b128 v166, v[20:23] offset:208
	ds_write_b128 v165, v[28:31]
	ds_write_b128 v165, v[24:27] offset:208
	s_waitcnt lgkmcnt(0)
	s_barrier
	ds_read_b128 v[0:3], v197
	ds_read_b128 v[4:7], v197 offset:1664
	ds_read_b128 v[8:11], v197 offset:6656
	ds_read_b128 v[12:15], v197 offset:8320
	ds_read_b128 v[16:19], v197 offset:3328
	ds_read_b128 v[20:23], v197 offset:4992
	ds_read_b128 v[24:27], v197 offset:9984
	ds_read_b128 v[28:31], v197 offset:11648
	s_waitcnt lgkmcnt(5)
	v_mul_f64 v[32:33], v[38:39], v[10:11]
	v_mul_f64 v[34:35], v[38:39], v[8:9]
	s_waitcnt lgkmcnt(4)
	v_mul_f64 v[38:39], v[42:43], v[14:15]
	v_mul_f64 v[42:43], v[42:43], v[12:13]
	s_waitcnt lgkmcnt(1)
	v_mul_f64 v[104:105], v[46:47], v[26:27]
	v_mul_f64 v[46:47], v[46:47], v[24:25]
	s_waitcnt lgkmcnt(0)
	v_mul_f64 v[106:107], v[50:51], v[30:31]
	v_mul_f64 v[50:51], v[50:51], v[28:29]
	v_fma_f64 v[8:9], v[36:37], v[8:9], v[32:33]
	v_fma_f64 v[10:11], v[36:37], v[10:11], -v[34:35]
	v_fma_f64 v[12:13], v[40:41], v[12:13], v[38:39]
	v_fma_f64 v[14:15], v[40:41], v[14:15], -v[42:43]
	v_fma_f64 v[24:25], v[44:45], v[24:25], v[104:105]
	v_fma_f64 v[26:27], v[44:45], v[26:27], -v[46:47]
	v_fma_f64 v[28:29], v[48:49], v[28:29], v[106:107]
	v_fma_f64 v[30:31], v[48:49], v[30:31], -v[50:51]
	v_add_f64 v[8:9], v[0:1], -v[8:9]
	v_add_f64 v[10:11], v[2:3], -v[10:11]
	v_add_f64 v[12:13], v[4:5], -v[12:13]
	v_add_f64 v[14:15], v[6:7], -v[14:15]
	v_add_f64 v[24:25], v[16:17], -v[24:25]
	v_add_f64 v[26:27], v[18:19], -v[26:27]
	v_add_f64 v[28:29], v[20:21], -v[28:29]
	v_add_f64 v[30:31], v[22:23], -v[30:31]
	v_fma_f64 v[0:1], v[0:1], 2.0, -v[8:9]
	v_fma_f64 v[2:3], v[2:3], 2.0, -v[10:11]
	v_fma_f64 v[4:5], v[4:5], 2.0, -v[12:13]
	v_fma_f64 v[6:7], v[6:7], 2.0, -v[14:15]
	v_fma_f64 v[16:17], v[16:17], 2.0, -v[24:25]
	v_fma_f64 v[18:19], v[18:19], 2.0, -v[26:27]
	v_fma_f64 v[20:21], v[20:21], 2.0, -v[28:29]
	v_fma_f64 v[22:23], v[22:23], 2.0, -v[30:31]
	s_barrier
	ds_write_b128 v172, v[0:3]
	ds_write_b128 v172, v[8:11] offset:416
	ds_write_b128 v171, v[4:7]
	ds_write_b128 v171, v[12:15] offset:416
	ds_write_b128 v170, v[16:19]
	ds_write_b128 v170, v[24:27] offset:416
	ds_write_b128 v169, v[20:23]
	ds_write_b128 v169, v[28:31] offset:416
	s_waitcnt lgkmcnt(0)
	;; [unrolled: 55-line block ×3, first 2 shown]
	s_barrier
	ds_read_b128 v[0:3], v197
	ds_read_b128 v[4:7], v197 offset:1664
	ds_read_b128 v[8:11], v197 offset:6656
	;; [unrolled: 1-line block ×7, first 2 shown]
	s_waitcnt lgkmcnt(5)
	v_mul_f64 v[32:33], v[70:71], v[10:11]
	v_mul_f64 v[34:35], v[70:71], v[8:9]
	s_waitcnt lgkmcnt(4)
	v_mul_f64 v[36:37], v[70:71], v[14:15]
	v_mul_f64 v[38:39], v[70:71], v[12:13]
	;; [unrolled: 3-line block ×4, first 2 shown]
	v_fma_f64 v[8:9], v[68:69], v[8:9], v[32:33]
	v_fma_f64 v[10:11], v[68:69], v[10:11], -v[34:35]
	v_fma_f64 v[12:13], v[68:69], v[12:13], v[36:37]
	v_fma_f64 v[14:15], v[68:69], v[14:15], -v[38:39]
	;; [unrolled: 2-line block ×4, first 2 shown]
	v_add_f64 v[8:9], v[0:1], -v[8:9]
	v_add_f64 v[10:11], v[2:3], -v[10:11]
	;; [unrolled: 1-line block ×8, first 2 shown]
	v_fma_f64 v[0:1], v[0:1], 2.0, -v[8:9]
	v_fma_f64 v[2:3], v[2:3], 2.0, -v[10:11]
	;; [unrolled: 1-line block ×8, first 2 shown]
	s_barrier
	ds_write_b128 v197, v[0:3]
	ds_write_b128 v197, v[8:11] offset:1664
	ds_write_b128 v197, v[4:7] offset:3328
	;; [unrolled: 1-line block ×7, first 2 shown]
	s_waitcnt lgkmcnt(0)
	s_barrier
	ds_read_b128 v[0:3], v197
	ds_read_b128 v[4:7], v197 offset:1664
	ds_read_b128 v[8:11], v197 offset:6656
	ds_read_b128 v[12:15], v197 offset:8320
	ds_read_b128 v[16:19], v197 offset:3328
	ds_read_b128 v[20:23], v197 offset:4992
	ds_read_b128 v[24:27], v197 offset:9984
	ds_read_b128 v[28:31], v197 offset:11648
	s_waitcnt lgkmcnt(5)
	v_mul_f64 v[32:33], v[82:83], v[10:11]
	v_mul_f64 v[34:35], v[82:83], v[8:9]
	s_waitcnt lgkmcnt(4)
	v_mul_f64 v[36:37], v[86:87], v[14:15]
	v_mul_f64 v[38:39], v[86:87], v[12:13]
	;; [unrolled: 3-line block ×4, first 2 shown]
	v_fma_f64 v[8:9], v[80:81], v[8:9], v[32:33]
	v_fma_f64 v[10:11], v[80:81], v[10:11], -v[34:35]
	v_fma_f64 v[12:13], v[84:85], v[12:13], v[36:37]
	v_fma_f64 v[14:15], v[84:85], v[14:15], -v[38:39]
	v_fma_f64 v[24:25], v[80:81], v[24:25], v[40:41]
	v_fma_f64 v[26:27], v[80:81], v[26:27], -v[42:43]
	v_fma_f64 v[28:29], v[84:85], v[28:29], v[44:45]
	v_fma_f64 v[30:31], v[84:85], v[30:31], -v[46:47]
	v_add_f64 v[8:9], v[0:1], -v[8:9]
	v_add_f64 v[10:11], v[2:3], -v[10:11]
	;; [unrolled: 1-line block ×8, first 2 shown]
	v_fma_f64 v[0:1], v[0:1], 2.0, -v[8:9]
	v_fma_f64 v[2:3], v[2:3], 2.0, -v[10:11]
	;; [unrolled: 1-line block ×8, first 2 shown]
	s_barrier
	ds_write_b128 v197, v[0:3]
	ds_write_b128 v197, v[8:11] offset:3328
	ds_write_b128 v197, v[4:7] offset:1664
	;; [unrolled: 1-line block ×7, first 2 shown]
	s_waitcnt lgkmcnt(0)
	s_barrier
	ds_read_b128 v[0:3], v197
	ds_read_b128 v[4:7], v197 offset:1664
	ds_read_b128 v[8:11], v197 offset:6656
	;; [unrolled: 1-line block ×7, first 2 shown]
	s_waitcnt lgkmcnt(5)
	v_mul_f64 v[32:33], v[94:95], v[10:11]
	v_mul_f64 v[34:35], v[94:95], v[8:9]
	s_waitcnt lgkmcnt(4)
	v_mul_f64 v[36:37], v[90:91], v[14:15]
	v_mul_f64 v[38:39], v[90:91], v[12:13]
	;; [unrolled: 3-line block ×4, first 2 shown]
	v_fma_f64 v[8:9], v[92:93], v[8:9], v[32:33]
	v_fma_f64 v[10:11], v[92:93], v[10:11], -v[34:35]
	v_fma_f64 v[12:13], v[88:89], v[12:13], v[36:37]
	v_fma_f64 v[14:15], v[88:89], v[14:15], -v[38:39]
	;; [unrolled: 2-line block ×4, first 2 shown]
	v_add_f64 v[8:9], v[0:1], -v[8:9]
	v_add_f64 v[10:11], v[2:3], -v[10:11]
	;; [unrolled: 1-line block ×8, first 2 shown]
	v_fma_f64 v[0:1], v[0:1], 2.0, -v[8:9]
	v_fma_f64 v[2:3], v[2:3], 2.0, -v[10:11]
	;; [unrolled: 1-line block ×8, first 2 shown]
	ds_write_b128 v197, v[0:3]
	ds_write_b128 v197, v[8:11] offset:6656
	ds_write_b128 v197, v[4:7] offset:1664
	;; [unrolled: 1-line block ×7, first 2 shown]
	s_waitcnt lgkmcnt(0)
	s_barrier
	s_and_b64 exec, exec, vcc
	s_cbranch_execz .LBB0_15
; %bb.14:
	global_load_dwordx4 v[0:3], v241, s[12:13]
	global_load_dwordx4 v[4:7], v241, s[12:13] offset:1024
	global_load_dwordx4 v[8:11], v241, s[12:13] offset:2048
	;; [unrolled: 1-line block ×3, first 2 shown]
	v_or_b32_e32 v69, 0x100, v242
	v_lshlrev_b32_e32 v20, 4, v69
	global_load_dwordx4 v[20:23], v20, s[12:13]
	v_or_b32_e32 v70, 0x140, v242
	v_or_b32_e32 v71, 0x180, v242
	;; [unrolled: 1-line block ×3, first 2 shown]
	v_lshlrev_b32_e32 v62, 4, v70
	ds_read_b128 v[16:19], v197
	ds_read_b128 v[24:27], v241 offset:1024
	ds_read_b128 v[28:31], v241 offset:2048
	;; [unrolled: 1-line block ×4, first 2 shown]
	v_lshlrev_b32_e32 v63, 4, v71
	v_lshlrev_b32_e32 v64, 4, v72
	global_load_dwordx4 v[40:43], v62, s[12:13]
	global_load_dwordx4 v[44:47], v63, s[12:13]
	;; [unrolled: 1-line block ×3, first 2 shown]
	v_mad_u64_u32 v[52:53], s[0:1], s6, v252, 0
	v_mad_u64_u32 v[54:55], s[2:3], s4, v242, 0
	v_or_b32_e32 v65, 64, v242
	v_mad_u64_u32 v[56:57], s[2:3], s4, v65, 0
	v_or_b32_e32 v66, 0x80, v242
	;; [unrolled: 2-line block ×3, first 2 shown]
	v_mad_u64_u32 v[62:63], s[2:3], s7, v252, v[53:54]
	v_mad_u64_u32 v[60:61], s[2:3], s4, v67, 0
	;; [unrolled: 1-line block ×4, first 2 shown]
	v_mov_b32_e32 v53, v59
	v_mad_u64_u32 v[65:66], s[2:3], s5, v66, v[53:54]
	v_mov_b32_e32 v53, v62
	v_mov_b32_e32 v55, v61
	v_lshlrev_b64 v[52:53], 4, v[52:53]
	v_mad_u64_u32 v[66:67], s[2:3], s5, v67, v[55:56]
	v_mov_b32_e32 v55, v63
	v_mov_b32_e32 v68, s15
	v_lshlrev_b64 v[54:55], 4, v[54:55]
	v_add_co_u32_e32 v73, vcc, s14, v52
	v_mov_b32_e32 v57, v64
	v_addc_co_u32_e32 v68, vcc, v68, v53, vcc
	v_lshlrev_b64 v[56:57], 4, v[56:57]
	v_add_co_u32_e32 v52, vcc, v73, v54
	v_addc_co_u32_e32 v53, vcc, v68, v55, vcc
	v_add_co_u32_e32 v54, vcc, v73, v56
	v_addc_co_u32_e32 v55, vcc, v68, v57, vcc
	v_mov_b32_e32 v59, v65
	s_mov_b32 s0, 0x13b13b14
	s_mov_b32 s1, 0x3f53b13b
	v_mov_b32_e32 v61, v66
	v_lshlrev_b64 v[58:59], 4, v[58:59]
	s_waitcnt vmcnt(7) lgkmcnt(4)
	v_mul_f64 v[56:57], v[18:19], v[2:3]
	v_mul_f64 v[2:3], v[16:17], v[2:3]
	s_waitcnt vmcnt(6) lgkmcnt(3)
	v_mul_f64 v[62:63], v[26:27], v[6:7]
	v_mul_f64 v[6:7], v[24:25], v[6:7]
	;; [unrolled: 3-line block ×4, first 2 shown]
	v_fma_f64 v[16:17], v[16:17], v[0:1], v[56:57]
	v_fma_f64 v[2:3], v[0:1], v[18:19], -v[2:3]
	v_fma_f64 v[18:19], v[24:25], v[4:5], v[62:63]
	v_fma_f64 v[6:7], v[4:5], v[26:27], -v[6:7]
	;; [unrolled: 2-line block ×4, first 2 shown]
	v_mul_f64 v[0:1], v[16:17], s[0:1]
	v_mul_f64 v[2:3], v[2:3], s[0:1]
	;; [unrolled: 1-line block ×6, first 2 shown]
	v_add_co_u32_e32 v16, vcc, v73, v58
	v_addc_co_u32_e32 v17, vcc, v68, v59, vcc
	global_store_dwordx4 v[52:53], v[0:3], off
	global_store_dwordx4 v[54:55], v[4:7], off
	;; [unrolled: 1-line block ×3, first 2 shown]
	v_or_b32_e32 v52, 0x200, v242
	v_lshlrev_b32_e32 v0, 4, v52
	global_load_dwordx4 v[0:3], v0, s[12:13]
	s_waitcnt vmcnt(7) lgkmcnt(0)
	v_mul_f64 v[18:19], v[38:39], v[22:23]
	v_mul_f64 v[22:23], v[36:37], v[22:23]
	;; [unrolled: 1-line block ×4, first 2 shown]
	v_lshlrev_b64 v[4:5], 4, v[60:61]
	ds_read_b128 v[8:11], v241 offset:5120
	v_add_co_u32_e32 v4, vcc, v73, v4
	v_fma_f64 v[6:7], v[36:37], v[20:21], v[18:19]
	v_mad_u64_u32 v[18:19], s[2:3], s4, v69, 0
	v_fma_f64 v[16:17], v[20:21], v[38:39], -v[22:23]
	v_addc_co_u32_e32 v5, vcc, v68, v5, vcc
	global_store_dwordx4 v[4:5], v[12:15], off
	v_mov_b32_e32 v4, v19
	v_mad_u64_u32 v[12:13], s[2:3], s5, v69, v[4:5]
	v_or_b32_e32 v53, 0x240, v242
	v_mul_f64 v[4:5], v[6:7], s[0:1]
	v_mul_f64 v[6:7], v[16:17], s[0:1]
	v_mov_b32_e32 v19, v12
	ds_read_b128 v[12:15], v241 offset:6144
	s_waitcnt vmcnt(7) lgkmcnt(1)
	v_mul_f64 v[22:23], v[10:11], v[42:43]
	v_lshlrev_b32_e32 v16, 4, v53
	v_lshlrev_b64 v[20:21], 4, v[18:19]
	v_mul_f64 v[24:25], v[8:9], v[42:43]
	global_load_dwordx4 v[16:19], v16, s[12:13]
	s_waitcnt vmcnt(7) lgkmcnt(0)
	v_mul_f64 v[28:29], v[14:15], v[46:47]
	v_mul_f64 v[30:31], v[12:13], v[46:47]
	v_or_b32_e32 v46, 0x280, v242
	v_fma_f64 v[22:23], v[8:9], v[40:41], v[22:23]
	v_lshlrev_b32_e32 v8, 4, v46
	v_mad_u64_u32 v[26:27], s[2:3], s4, v70, 0
	v_fma_f64 v[24:25], v[40:41], v[10:11], -v[24:25]
	global_load_dwordx4 v[8:11], v8, s[12:13]
	v_add_co_u32_e32 v20, vcc, v73, v20
	v_addc_co_u32_e32 v21, vcc, v68, v21, vcc
	v_mad_u64_u32 v[32:33], s[2:3], s5, v70, v[27:28]
	global_store_dwordx4 v[20:21], v[4:7], off
	v_fma_f64 v[12:13], v[12:13], v[44:45], v[28:29]
	v_mul_f64 v[4:5], v[22:23], s[0:1]
	v_mul_f64 v[6:7], v[24:25], s[0:1]
	v_fma_f64 v[14:15], v[44:45], v[14:15], -v[30:31]
	v_mad_u64_u32 v[22:23], s[2:3], s4, v71, 0
	v_mov_b32_e32 v27, v32
	v_lshlrev_b64 v[20:21], 4, v[26:27]
	v_mad_u64_u32 v[23:24], s[2:3], s5, v71, v[23:24]
	v_add_co_u32_e32 v20, vcc, v73, v20
	v_addc_co_u32_e32 v21, vcc, v68, v21, vcc
	v_or_b32_e32 v44, 0x2c0, v242
	global_store_dwordx4 v[20:21], v[4:7], off
	v_lshlrev_b32_e32 v24, 4, v44
	v_mul_f64 v[4:5], v[12:13], s[0:1]
	v_mul_f64 v[6:7], v[14:15], s[0:1]
	v_lshlrev_b64 v[28:29], 4, v[22:23]
	ds_read_b128 v[12:15], v241 offset:7168
	ds_read_b128 v[20:23], v241 offset:8192
	global_load_dwordx4 v[24:27], v24, s[12:13]
	v_or_b32_e32 v45, 0x300, v242
	v_add_co_u32_e32 v36, vcc, v73, v28
	v_lshlrev_b32_e32 v28, 4, v45
	v_addc_co_u32_e32 v37, vcc, v68, v29, vcc
	global_load_dwordx4 v[28:31], v28, s[12:13]
	s_waitcnt vmcnt(11) lgkmcnt(1)
	v_mul_f64 v[32:33], v[14:15], v[50:51]
	v_mul_f64 v[34:35], v[12:13], v[50:51]
	v_mad_u64_u32 v[38:39], s[2:3], s4, v72, 0
	global_store_dwordx4 v[36:37], v[4:7], off
	s_waitcnt vmcnt(8) lgkmcnt(0)
	v_mul_f64 v[40:41], v[20:21], v[2:3]
	v_fma_f64 v[12:13], v[12:13], v[48:49], v[32:33]
	v_fma_f64 v[14:15], v[48:49], v[14:15], -v[34:35]
	v_mul_f64 v[33:34], v[22:23], v[2:3]
	v_mov_b32_e32 v32, v39
	v_mul_f64 v[2:3], v[12:13], s[0:1]
	v_mul_f64 v[4:5], v[14:15], s[0:1]
	v_mad_u64_u32 v[42:43], s[2:3], s5, v72, v[32:33]
	v_fma_f64 v[12:13], v[20:21], v[0:1], v[33:34]
	v_fma_f64 v[14:15], v[0:1], v[22:23], -v[40:41]
	v_mov_b32_e32 v39, v42
	v_lshlrev_b64 v[6:7], 4, v[38:39]
	v_mad_u64_u32 v[20:21], s[2:3], s4, v52, 0
	v_add_co_u32_e32 v0, vcc, v73, v6
	v_addc_co_u32_e32 v1, vcc, v68, v7, vcc
	global_store_dwordx4 v[0:1], v[2:5], off
	ds_read_b128 v[4:7], v241 offset:9216
	v_mov_b32_e32 v0, v21
	v_mad_u64_u32 v[21:22], s[2:3], s5, v52, v[0:1]
	v_mul_f64 v[0:1], v[12:13], s[0:1]
	v_mul_f64 v[2:3], v[14:15], s[0:1]
	ds_read_b128 v[12:15], v241 offset:10240
	s_waitcnt vmcnt(7) lgkmcnt(1)
	v_mul_f64 v[22:23], v[6:7], v[18:19]
	v_mul_f64 v[18:19], v[4:5], v[18:19]
	v_mad_u64_u32 v[32:33], s[2:3], s4, v53, 0
	v_lshlrev_b64 v[20:21], 4, v[20:21]
	v_add_co_u32_e32 v20, vcc, v73, v20
	v_fma_f64 v[4:5], v[4:5], v[16:17], v[22:23]
	v_fma_f64 v[6:7], v[16:17], v[6:7], -v[18:19]
	s_waitcnt vmcnt(6) lgkmcnt(0)
	v_mul_f64 v[17:18], v[14:15], v[10:11]
	v_mul_f64 v[10:11], v[12:13], v[10:11]
	v_mov_b32_e32 v16, v33
	v_addc_co_u32_e32 v21, vcc, v68, v21, vcc
	global_store_dwordx4 v[20:21], v[0:3], off
	v_mad_u64_u32 v[22:23], s[2:3], s5, v53, v[16:17]
	v_mul_f64 v[0:1], v[4:5], s[0:1]
	v_mul_f64 v[2:3], v[6:7], s[0:1]
	v_fma_f64 v[6:7], v[12:13], v[8:9], v[17:18]
	v_mov_b32_e32 v33, v22
	v_lshlrev_b64 v[4:5], 4, v[32:33]
	v_fma_f64 v[8:9], v[8:9], v[14:15], -v[10:11]
	v_mad_u64_u32 v[10:11], s[2:3], s4, v46, 0
	v_add_co_u32_e32 v4, vcc, v73, v4
	v_addc_co_u32_e32 v5, vcc, v68, v5, vcc
	global_store_dwordx4 v[4:5], v[0:3], off
	v_mad_u64_u32 v[18:19], s[2:3], s4, v44, 0
	v_mov_b32_e32 v0, v11
	v_mad_u64_u32 v[11:12], s[2:3], s5, v46, v[0:1]
	v_mul_f64 v[0:1], v[6:7], s[0:1]
	ds_read_b128 v[4:7], v241 offset:11264
	v_mul_f64 v[2:3], v[8:9], s[0:1]
	v_lshlrev_b64 v[12:13], 4, v[10:11]
	ds_read_b128 v[8:11], v241 offset:12288
	v_add_co_u32_e32 v12, vcc, v73, v12
	s_waitcnt vmcnt(5) lgkmcnt(1)
	v_mul_f64 v[14:15], v[6:7], v[26:27]
	v_mul_f64 v[16:17], v[4:5], v[26:27]
	s_waitcnt vmcnt(4) lgkmcnt(0)
	v_mul_f64 v[20:21], v[8:9], v[30:31]
	v_addc_co_u32_e32 v13, vcc, v68, v13, vcc
	global_store_dwordx4 v[12:13], v[0:3], off
	v_fma_f64 v[4:5], v[4:5], v[24:25], v[14:15]
	v_fma_f64 v[6:7], v[24:25], v[6:7], -v[16:17]
	v_mul_f64 v[15:16], v[10:11], v[30:31]
	v_mov_b32_e32 v14, v19
	v_mul_f64 v[0:1], v[4:5], s[0:1]
	v_mul_f64 v[2:3], v[6:7], s[0:1]
	v_mad_u64_u32 v[22:23], s[2:3], s5, v44, v[14:15]
	v_fma_f64 v[6:7], v[8:9], v[28:29], v[15:16]
	v_fma_f64 v[8:9], v[28:29], v[10:11], -v[20:21]
	v_mad_u64_u32 v[10:11], s[2:3], s4, v45, 0
	v_mov_b32_e32 v19, v22
	v_lshlrev_b64 v[4:5], 4, v[18:19]
	v_add_co_u32_e32 v12, vcc, v73, v4
	v_mov_b32_e32 v4, v11
	v_mad_u64_u32 v[14:15], s[2:3], s5, v45, v[4:5]
	v_addc_co_u32_e32 v13, vcc, v68, v5, vcc
	v_mul_f64 v[4:5], v[6:7], s[0:1]
	v_mul_f64 v[6:7], v[8:9], s[0:1]
	v_mov_b32_e32 v11, v14
	global_store_dwordx4 v[12:13], v[0:3], off
	s_nop 0
	v_lshlrev_b64 v[0:1], 4, v[10:11]
	v_add_co_u32_e32 v0, vcc, v73, v0
	v_addc_co_u32_e32 v1, vcc, v68, v1, vcc
	global_store_dwordx4 v[0:1], v[4:7], off
.LBB0_15:
	s_endpgm
	.section	.rodata,"a",@progbits
	.p2align	6, 0x0
	.amdhsa_kernel bluestein_single_fwd_len832_dim1_dp_op_CI_CI
		.amdhsa_group_segment_fixed_size 13312
		.amdhsa_private_segment_fixed_size 120
		.amdhsa_kernarg_size 104
		.amdhsa_user_sgpr_count 6
		.amdhsa_user_sgpr_private_segment_buffer 1
		.amdhsa_user_sgpr_dispatch_ptr 0
		.amdhsa_user_sgpr_queue_ptr 0
		.amdhsa_user_sgpr_kernarg_segment_ptr 1
		.amdhsa_user_sgpr_dispatch_id 0
		.amdhsa_user_sgpr_flat_scratch_init 0
		.amdhsa_user_sgpr_private_segment_size 0
		.amdhsa_uses_dynamic_stack 0
		.amdhsa_system_sgpr_private_segment_wavefront_offset 1
		.amdhsa_system_sgpr_workgroup_id_x 1
		.amdhsa_system_sgpr_workgroup_id_y 0
		.amdhsa_system_sgpr_workgroup_id_z 0
		.amdhsa_system_sgpr_workgroup_info 0
		.amdhsa_system_vgpr_workitem_id 0
		.amdhsa_next_free_vgpr 256
		.amdhsa_next_free_sgpr 52
		.amdhsa_reserve_vcc 1
		.amdhsa_reserve_flat_scratch 0
		.amdhsa_float_round_mode_32 0
		.amdhsa_float_round_mode_16_64 0
		.amdhsa_float_denorm_mode_32 3
		.amdhsa_float_denorm_mode_16_64 3
		.amdhsa_dx10_clamp 1
		.amdhsa_ieee_mode 1
		.amdhsa_fp16_overflow 0
		.amdhsa_exception_fp_ieee_invalid_op 0
		.amdhsa_exception_fp_denorm_src 0
		.amdhsa_exception_fp_ieee_div_zero 0
		.amdhsa_exception_fp_ieee_overflow 0
		.amdhsa_exception_fp_ieee_underflow 0
		.amdhsa_exception_fp_ieee_inexact 0
		.amdhsa_exception_int_div_zero 0
	.end_amdhsa_kernel
	.text
.Lfunc_end0:
	.size	bluestein_single_fwd_len832_dim1_dp_op_CI_CI, .Lfunc_end0-bluestein_single_fwd_len832_dim1_dp_op_CI_CI
                                        ; -- End function
	.section	.AMDGPU.csdata,"",@progbits
; Kernel info:
; codeLenInByte = 18720
; NumSgprs: 56
; NumVgprs: 256
; ScratchSize: 120
; MemoryBound: 0
; FloatMode: 240
; IeeeMode: 1
; LDSByteSize: 13312 bytes/workgroup (compile time only)
; SGPRBlocks: 6
; VGPRBlocks: 63
; NumSGPRsForWavesPerEU: 56
; NumVGPRsForWavesPerEU: 256
; Occupancy: 1
; WaveLimiterHint : 1
; COMPUTE_PGM_RSRC2:SCRATCH_EN: 1
; COMPUTE_PGM_RSRC2:USER_SGPR: 6
; COMPUTE_PGM_RSRC2:TRAP_HANDLER: 0
; COMPUTE_PGM_RSRC2:TGID_X_EN: 1
; COMPUTE_PGM_RSRC2:TGID_Y_EN: 0
; COMPUTE_PGM_RSRC2:TGID_Z_EN: 0
; COMPUTE_PGM_RSRC2:TIDIG_COMP_CNT: 0
	.type	__hip_cuid_8a5285d5103eb7a7,@object ; @__hip_cuid_8a5285d5103eb7a7
	.section	.bss,"aw",@nobits
	.globl	__hip_cuid_8a5285d5103eb7a7
__hip_cuid_8a5285d5103eb7a7:
	.byte	0                               ; 0x0
	.size	__hip_cuid_8a5285d5103eb7a7, 1

	.ident	"AMD clang version 19.0.0git (https://github.com/RadeonOpenCompute/llvm-project roc-6.4.0 25133 c7fe45cf4b819c5991fe208aaa96edf142730f1d)"
	.section	".note.GNU-stack","",@progbits
	.addrsig
	.addrsig_sym __hip_cuid_8a5285d5103eb7a7
	.amdgpu_metadata
---
amdhsa.kernels:
  - .args:
      - .actual_access:  read_only
        .address_space:  global
        .offset:         0
        .size:           8
        .value_kind:     global_buffer
      - .actual_access:  read_only
        .address_space:  global
        .offset:         8
        .size:           8
        .value_kind:     global_buffer
      - .actual_access:  read_only
        .address_space:  global
        .offset:         16
        .size:           8
        .value_kind:     global_buffer
      - .actual_access:  read_only
        .address_space:  global
        .offset:         24
        .size:           8
        .value_kind:     global_buffer
      - .actual_access:  read_only
        .address_space:  global
        .offset:         32
        .size:           8
        .value_kind:     global_buffer
      - .offset:         40
        .size:           8
        .value_kind:     by_value
      - .address_space:  global
        .offset:         48
        .size:           8
        .value_kind:     global_buffer
      - .address_space:  global
        .offset:         56
        .size:           8
        .value_kind:     global_buffer
      - .address_space:  global
        .offset:         64
        .size:           8
        .value_kind:     global_buffer
      - .address_space:  global
        .offset:         72
        .size:           8
        .value_kind:     global_buffer
      - .offset:         80
        .size:           4
        .value_kind:     by_value
      - .address_space:  global
        .offset:         88
        .size:           8
        .value_kind:     global_buffer
      - .address_space:  global
        .offset:         96
        .size:           8
        .value_kind:     global_buffer
    .group_segment_fixed_size: 13312
    .kernarg_segment_align: 8
    .kernarg_segment_size: 104
    .language:       OpenCL C
    .language_version:
      - 2
      - 0
    .max_flat_workgroup_size: 104
    .name:           bluestein_single_fwd_len832_dim1_dp_op_CI_CI
    .private_segment_fixed_size: 120
    .sgpr_count:     56
    .sgpr_spill_count: 0
    .symbol:         bluestein_single_fwd_len832_dim1_dp_op_CI_CI.kd
    .uniform_work_group_size: 1
    .uses_dynamic_stack: false
    .vgpr_count:     256
    .vgpr_spill_count: 37
    .wavefront_size: 64
amdhsa.target:   amdgcn-amd-amdhsa--gfx906
amdhsa.version:
  - 1
  - 2
...

	.end_amdgpu_metadata
